;; amdgpu-corpus repo=ROCm/rocFFT kind=compiled arch=gfx1030 opt=O3
	.text
	.amdgcn_target "amdgcn-amd-amdhsa--gfx1030"
	.amdhsa_code_object_version 6
	.protected	bluestein_single_back_len1848_dim1_half_op_CI_CI ; -- Begin function bluestein_single_back_len1848_dim1_half_op_CI_CI
	.globl	bluestein_single_back_len1848_dim1_half_op_CI_CI
	.p2align	8
	.type	bluestein_single_back_len1848_dim1_half_op_CI_CI,@function
bluestein_single_back_len1848_dim1_half_op_CI_CI: ; @bluestein_single_back_len1848_dim1_half_op_CI_CI
; %bb.0:
	s_load_dwordx4 s[8:11], s[4:5], 0x28
	v_mul_u32_u24_e32 v1, 0x11c, v0
	v_mov_b32_e32 v24, 0
	s_mov_b32 s0, exec_lo
	v_lshrrev_b32_e32 v1, 16, v1
	v_add_nc_u32_e32 v23, s6, v1
	s_waitcnt lgkmcnt(0)
	v_cmpx_gt_u64_e64 s[8:9], v[23:24]
	s_cbranch_execz .LBB0_31
; %bb.1:
	s_clause 0x1
	s_load_dwordx4 s[0:3], s[4:5], 0x18
	s_load_dwordx2 s[6:7], s[4:5], 0x0
	v_mul_lo_u16 v1, 0xe7, v1
	v_sub_nc_u16 v9, v0, v1
	v_and_b32_e32 v47, 0xffff, v9
	v_lshlrev_b32_e32 v42, 2, v47
	s_waitcnt lgkmcnt(0)
	s_load_dwordx4 s[12:15], s[0:1], 0x0
	v_add_co_u32 v21, s0, s6, v42
	v_add_co_ci_u32_e64 v22, null, s7, 0, s0
	global_load_dword v49, v42, s[6:7]
	v_add_co_u32 v4, vcc_lo, 0x800, v21
	v_add_co_ci_u32_e32 v5, vcc_lo, 0, v22, vcc_lo
	v_add_co_u32 v19, vcc_lo, 0x1000, v21
	v_add_co_ci_u32_e32 v20, vcc_lo, 0, v22, vcc_lo
	s_clause 0x1
	global_load_dword v48, v[4:5], off offset:416
	global_load_dword v46, v[19:20], off offset:832
	s_waitcnt lgkmcnt(0)
	v_mad_u64_u32 v[0:1], null, s14, v23, 0
	v_mad_u64_u32 v[2:3], null, s12, v47, 0
	s_mul_i32 s1, s13, 0x268
	s_mul_hi_u32 s9, s12, 0x268
	s_mul_i32 s0, s12, 0x268
	s_mul_i32 s14, s13, 0xfffffc17
	s_add_i32 s1, s9, s1
	s_mul_i32 s8, s12, 0xfffffc17
	v_mad_u64_u32 v[6:7], null, s15, v23, v[1:2]
	v_mad_u64_u32 v[7:8], null, s13, v47, v[3:4]
	s_mul_hi_u32 s13, s12, 0xfffffc17
	s_sub_i32 s9, s13, s12
	s_lshl_b64 s[12:13], s[0:1], 2
	v_mov_b32_e32 v1, v6
	s_add_i32 s9, s9, s14
	v_mov_b32_e32 v3, v7
	s_lshl_b64 s[0:1], s[8:9], 2
	v_lshlrev_b64 v[0:1], 2, v[0:1]
	v_lshlrev_b64 v[2:3], 2, v[2:3]
	v_add_co_u32 v0, vcc_lo, s10, v0
	v_add_co_ci_u32_e32 v1, vcc_lo, s11, v1, vcc_lo
	v_add_co_u32 v0, vcc_lo, v0, v2
	v_add_co_ci_u32_e32 v1, vcc_lo, v1, v3, vcc_lo
	;; [unrolled: 2-line block ×3, first 2 shown]
	s_clause 0x1
	global_load_dword v8, v[0:1], off
	global_load_dword v10, v[2:3], off
	v_add_co_u32 v0, vcc_lo, v2, s12
	v_add_co_ci_u32_e32 v1, vcc_lo, s13, v3, vcc_lo
	v_add_co_u32 v2, vcc_lo, v0, s0
	v_add_co_ci_u32_e32 v3, vcc_lo, s1, v1, vcc_lo
	global_load_dword v11, v[0:1], off
	v_add_co_u32 v6, vcc_lo, v2, s12
	global_load_dword v2, v[2:3], off
	v_add_co_ci_u32_e32 v7, vcc_lo, s13, v3, vcc_lo
	v_add_co_u32 v0, vcc_lo, v6, s12
	v_add_co_ci_u32_e32 v1, vcc_lo, s13, v7, vcc_lo
	global_load_dword v45, v42, s[6:7] offset:924
	global_load_dword v3, v[6:7], off
	global_load_dword v6, v[0:1], off
	s_clause 0x1
	global_load_dword v44, v[4:5], off offset:1340
	global_load_dword v43, v[19:20], off offset:1756
	s_load_dwordx2 s[6:7], s[4:5], 0x38
	s_load_dwordx4 s[8:11], s[2:3], 0x0
	v_cmp_gt_u16_e32 vcc_lo, 0x9a, v9
	s_waitcnt vmcnt(8)
	v_lshrrev_b32_e32 v4, 16, v8
	v_mul_f16_sdwa v5, v49, v8 dst_sel:DWORD dst_unused:UNUSED_PAD src0_sel:WORD_1 src1_sel:DWORD
	s_waitcnt vmcnt(7)
	v_lshrrev_b32_e32 v12, 16, v10
	v_mul_f16_sdwa v7, v49, v4 dst_sel:DWORD dst_unused:UNUSED_PAD src0_sel:WORD_1 src1_sel:DWORD
	v_fma_f16 v4, v49, v4, -v5
	v_mul_f16_sdwa v5, v48, v10 dst_sel:DWORD dst_unused:UNUSED_PAD src0_sel:WORD_1 src1_sel:DWORD
	v_fmac_f16_e32 v7, v49, v8
	v_mul_f16_sdwa v8, v48, v12 dst_sel:DWORD dst_unused:UNUSED_PAD src0_sel:WORD_1 src1_sel:DWORD
	v_fma_f16 v5, v48, v12, -v5
	s_waitcnt vmcnt(6)
	v_lshrrev_b32_e32 v13, 16, v11
	v_mul_f16_sdwa v14, v46, v11 dst_sel:DWORD dst_unused:UNUSED_PAD src0_sel:WORD_1 src1_sel:DWORD
	v_pack_b32_f16 v4, v7, v4
	v_fmac_f16_e32 v8, v48, v10
	s_waitcnt vmcnt(5)
	v_lshrrev_b32_e32 v12, 16, v2
	v_mul_f16_sdwa v7, v46, v13 dst_sel:DWORD dst_unused:UNUSED_PAD src0_sel:WORD_1 src1_sel:DWORD
	v_fma_f16 v10, v46, v13, -v14
	s_waitcnt vmcnt(4)
	v_mul_f16_sdwa v13, v45, v2 dst_sel:DWORD dst_unused:UNUSED_PAD src0_sel:WORD_1 src1_sel:DWORD
	v_pack_b32_f16 v5, v8, v5
	s_waitcnt vmcnt(3)
	v_lshrrev_b32_e32 v8, 16, v3
	v_fmac_f16_e32 v7, v46, v11
	s_waitcnt vmcnt(2)
	v_lshrrev_b32_e32 v11, 16, v6
	v_mul_f16_sdwa v14, v45, v12 dst_sel:DWORD dst_unused:UNUSED_PAD src0_sel:WORD_1 src1_sel:DWORD
	v_fma_f16 v12, v45, v12, -v13
	s_waitcnt vmcnt(1)
	v_mul_f16_sdwa v13, v44, v3 dst_sel:DWORD dst_unused:UNUSED_PAD src0_sel:WORD_1 src1_sel:DWORD
	v_mul_f16_sdwa v15, v44, v8 dst_sel:DWORD dst_unused:UNUSED_PAD src0_sel:WORD_1 src1_sel:DWORD
	s_waitcnt vmcnt(0)
	v_mul_f16_sdwa v16, v43, v11 dst_sel:DWORD dst_unused:UNUSED_PAD src0_sel:WORD_1 src1_sel:DWORD
	v_mul_f16_sdwa v17, v43, v6 dst_sel:DWORD dst_unused:UNUSED_PAD src0_sel:WORD_1 src1_sel:DWORD
	v_fmac_f16_e32 v14, v45, v2
	v_fma_f16 v2, v44, v8, -v13
	v_fmac_f16_e32 v15, v44, v3
	v_fmac_f16_e32 v16, v43, v6
	v_fma_f16 v3, v43, v11, -v17
	ds_write_b32 v42, v5 offset:2464
	v_pack_b32_f16 v5, v7, v10
	v_pack_b32_f16 v6, v14, v12
	;; [unrolled: 1-line block ×4, first 2 shown]
	ds_write_b32 v42, v5 offset:4928
	ds_write2_b32 v42, v4, v6 offset1:231
	ds_write_b32 v42, v2 offset:3388
	ds_write_b32 v42, v3 offset:5852
	s_and_saveexec_b32 s2, vcc_lo
	s_cbranch_execz .LBB0_3
; %bb.2:
	v_add_co_u32 v0, s0, v0, s0
	v_add_co_ci_u32_e64 v1, s0, s1, v1, s0
	v_add_co_u32 v2, s0, v0, s12
	v_add_co_ci_u32_e64 v3, s0, s13, v1, s0
	;; [unrolled: 2-line block ×3, first 2 shown]
	global_load_dword v6, v[21:22], off offset:1848
	global_load_dword v7, v[0:1], off
	global_load_dword v2, v[2:3], off
	;; [unrolled: 1-line block ×3, first 2 shown]
	v_add_co_u32 v0, s0, 0x1800, v21
	v_add_co_ci_u32_e64 v1, s0, 0, v22, s0
	s_clause 0x1
	global_load_dword v4, v[19:20], off offset:216
	global_load_dword v0, v[0:1], off offset:632
	s_waitcnt vmcnt(4)
	v_lshrrev_b32_e32 v1, 16, v7
	v_mul_f16_sdwa v5, v6, v7 dst_sel:DWORD dst_unused:UNUSED_PAD src0_sel:WORD_1 src1_sel:DWORD
	s_waitcnt vmcnt(3)
	v_lshrrev_b32_e32 v8, 16, v2
	s_waitcnt vmcnt(2)
	v_lshrrev_b32_e32 v9, 16, v3
	v_mul_f16_sdwa v10, v6, v1 dst_sel:DWORD dst_unused:UNUSED_PAD src0_sel:WORD_1 src1_sel:DWORD
	v_fma_f16 v1, v6, v1, -v5
	s_waitcnt vmcnt(1)
	v_mul_f16_sdwa v5, v4, v2 dst_sel:DWORD dst_unused:UNUSED_PAD src0_sel:WORD_1 src1_sel:DWORD
	v_mul_f16_sdwa v11, v4, v8 dst_sel:DWORD dst_unused:UNUSED_PAD src0_sel:WORD_1 src1_sel:DWORD
	s_waitcnt vmcnt(0)
	v_mul_f16_sdwa v12, v0, v9 dst_sel:DWORD dst_unused:UNUSED_PAD src0_sel:WORD_1 src1_sel:DWORD
	v_mul_f16_sdwa v13, v0, v3 dst_sel:DWORD dst_unused:UNUSED_PAD src0_sel:WORD_1 src1_sel:DWORD
	v_fmac_f16_e32 v10, v6, v7
	v_fma_f16 v5, v4, v8, -v5
	v_fmac_f16_e32 v11, v4, v2
	v_fmac_f16_e32 v12, v0, v3
	v_fma_f16 v0, v0, v9, -v13
	v_pack_b32_f16 v1, v10, v1
	v_pack_b32_f16 v2, v11, v5
	;; [unrolled: 1-line block ×3, first 2 shown]
	ds_write_b32 v42, v1 offset:1848
	ds_write_b32 v42, v2 offset:4312
	;; [unrolled: 1-line block ×3, first 2 shown]
.LBB0_3:
	s_or_b32 exec_lo, exec_lo, s2
	v_add_nc_u32_e32 v0, 0x980, v42
	v_add_nc_u32_e32 v1, 0x1300, v42
	s_waitcnt lgkmcnt(0)
	s_barrier
	buffer_gl0_inv
	ds_read2_b32 v[2:3], v42 offset1:231
	ds_read2_b32 v[5:6], v0 offset0:8 offset1:239
	ds_read2_b32 v[0:1], v1 offset0:16 offset1:247
                                        ; implicit-def: $vgpr8
                                        ; implicit-def: $vgpr7
                                        ; implicit-def: $vgpr9
	s_and_saveexec_b32 s0, vcc_lo
	s_cbranch_execz .LBB0_5
; %bb.4:
	ds_read_b32 v9, v42 offset:1848
	ds_read_b32 v7, v42 offset:4312
	;; [unrolled: 1-line block ×3, first 2 shown]
.LBB0_5:
	s_or_b32 exec_lo, exec_lo, s0
	s_waitcnt lgkmcnt(0)
	v_pk_add_f16 v4, v5, v0
	v_pk_add_f16 v10, v5, v0 neg_lo:[0,1] neg_hi:[0,1]
	v_pk_add_f16 v5, v2, v5
	s_load_dwordx2 s[2:3], s[4:5], 0x8
	v_pk_add_f16 v12, v8, v7
	v_pk_fma_f16 v2, v4, 0.5, v2 op_sel_hi:[1,0,1] neg_lo:[1,0,0] neg_hi:[1,0,0]
	v_pk_add_f16 v13, v7, v8 neg_lo:[0,1] neg_hi:[0,1]
	v_pk_add_f16 v4, v5, v0
	v_pk_add_f16 v0, v6, v1
	v_pk_add_f16 v14, v6, v1 neg_lo:[0,1] neg_hi:[0,1]
	v_pk_mul_f16 v10, 0x3aee, v10 op_sel_hi:[0,1]
	v_add_co_u32 v18, null, 0xe7, v47
	v_pk_add_f16 v6, v3, v6
	v_pk_fma_f16 v0, v0, 0.5, v3 op_sel_hi:[1,0,1] neg_lo:[1,0,0] neg_hi:[1,0,0]
	v_pk_fma_f16 v3, v12, 0.5, v9 op_sel_hi:[1,0,1] neg_lo:[1,0,0] neg_hi:[1,0,0]
	v_pk_mul_f16 v15, 0x3aee, v13 op_sel_hi:[0,1]
	v_pk_mul_f16 v14, 0x3aee, v14 op_sel_hi:[0,1]
	v_add_co_u32 v11, null, 0x1ce, v47
	v_pk_add_f16 v5, v2, v10 op_sel:[0,1] op_sel_hi:[1,0]
	v_pk_add_f16 v33, v2, v10 op_sel:[0,1] op_sel_hi:[1,0] neg_lo:[0,1] neg_hi:[0,1]
	v_pk_add_f16 v2, v7, v9
	v_pk_add_f16 v7, v3, v15 op_sel:[0,1] op_sel_hi:[1,0]
	v_pk_add_f16 v13, v0, v14 op_sel:[0,1] op_sel_hi:[1,0]
	v_pk_add_f16 v32, v0, v14 op_sel:[0,1] op_sel_hi:[1,0] neg_lo:[0,1] neg_hi:[0,1]
	v_mul_u32_u24_e32 v17, 3, v47
	v_mul_u32_u24_e32 v0, 3, v18
	v_pk_add_f16 v12, v6, v1
	v_pk_add_f16 v6, v8, v2
	v_pk_add_f16 v25, v3, v15 op_sel:[0,1] op_sel_hi:[1,0] neg_lo:[0,1] neg_hi:[0,1]
	v_lshrrev_b32_e32 v24, 16, v7
	v_lshlrev_b32_e32 v54, 2, v17
	v_lshlrev_b32_e32 v55, 2, v0
	v_mul_u32_u24_e32 v53, 3, v11
	v_bfi_b32 v1, 0xffff, v33, v5
	v_bfi_b32 v2, 0xffff, v5, v33
	;; [unrolled: 1-line block ×4, first 2 shown]
	s_waitcnt lgkmcnt(0)
	s_barrier
	buffer_gl0_inv
	ds_write_b32 v54, v4
	ds_write2_b32 v54, v2, v1 offset0:1 offset1:2
	ds_write_b32 v55, v12
	ds_write2_b32 v55, v3, v0 offset0:1 offset1:2
	s_and_saveexec_b32 s0, vcc_lo
	s_cbranch_execz .LBB0_7
; %bb.6:
	v_lshlrev_b32_e32 v0, 2, v53
	v_bfi_b32 v1, 0xffff, v7, v25
	v_perm_b32 v2, v24, v25, 0x5040100
	ds_write_b32 v0, v6
	ds_write2_b32 v0, v1, v2 offset0:1 offset1:2
.LBB0_7:
	s_or_b32 exec_lo, exec_lo, s0
	v_lshrrev_b32_e32 v52, 16, v5
	v_lshrrev_b32_e32 v35, 16, v13
	v_cmp_gt_u16_e64 s0, 0xa8, v47
	s_waitcnt lgkmcnt(0)
	s_barrier
	buffer_gl0_inv
                                        ; implicit-def: $vgpr34
                                        ; implicit-def: $vgpr36
                                        ; implicit-def: $vgpr16
                                        ; implicit-def: $vgpr60
	s_and_saveexec_b32 s1, s0
	s_cbranch_execz .LBB0_9
; %bb.8:
	v_add_nc_u32_e32 v0, 0x400, v42
	v_add_nc_u32_e32 v1, 0xa00, v42
	;; [unrolled: 1-line block ×4, first 2 shown]
	ds_read_b32 v34, v42 offset:6720
	ds_read2_b32 v[11:12], v0 offset0:80 offset1:248
	ds_read2_b32 v[13:14], v1 offset0:32 offset1:200
	;; [unrolled: 1-line block ×4, first 2 shown]
	ds_read2_b32 v[4:5], v42 offset1:168
	s_waitcnt lgkmcnt(5)
	v_lshrrev_b32_e32 v36, 16, v34
	s_waitcnt lgkmcnt(4)
	v_lshrrev_b32_e32 v52, 16, v11
	;; [unrolled: 2-line block ×4, first 2 shown]
	v_lshrrev_b32_e32 v60, 16, v16
	s_waitcnt lgkmcnt(1)
	v_bfi_b32 v25, 0xffff, v15, v7
	v_bfi_b32 v32, 0xffff, v14, v13
	s_waitcnt lgkmcnt(0)
	v_bfi_b32 v33, 0xffff, v11, v5
.LBB0_9:
	s_or_b32 exec_lo, exec_lo, s1
	v_and_b32_e32 v14, 0xff, v47
	v_lshrrev_b32_e32 v56, 16, v33
	v_lshrrev_b32_e32 v61, 16, v12
	v_lshrrev_b32_e32 v64, 16, v25
	v_lshrrev_b32_e32 v62, 16, v32
	v_mul_lo_u16 v0, 0xab, v14
	v_lshrrev_b32_e32 v63, 16, v6
	v_lshrrev_b16 v51, 9, v0
	v_mul_lo_u16 v0, v51, 3
	v_sub_nc_u16 v0, v47, v0
	v_and_b32_e32 v50, 0xff, v0
	v_mul_u32_u24_e32 v0, 10, v50
	v_lshlrev_b32_e32 v15, 2, v0
	s_clause 0x2
	global_load_dwordx4 v[8:11], v15, s[2:3]
	global_load_dwordx4 v[0:3], v15, s[2:3] offset:16
	global_load_dwordx2 v[26:27], v15, s[2:3] offset:32
	s_waitcnt vmcnt(0)
	s_barrier
	buffer_gl0_inv
	v_mul_f16_sdwa v57, v56, v8 dst_sel:DWORD dst_unused:UNUSED_PAD src0_sel:DWORD src1_sel:WORD_1
	v_mul_f16_sdwa v41, v5, v8 dst_sel:DWORD dst_unused:UNUSED_PAD src0_sel:DWORD src1_sel:WORD_1
	;; [unrolled: 1-line block ×10, first 2 shown]
	v_fma_f16 v59, v5, v8, -v57
	v_fmac_f16_e32 v41, v56, v8
	v_fma_f16 v5, v34, v27, -v72
	v_fmac_f16_e32 v28, v36, v27
	v_mul_f16_sdwa v39, v12, v10 dst_sel:DWORD dst_unused:UNUSED_PAD src0_sel:DWORD src1_sel:WORD_1
	v_mul_f16_sdwa v66, v62, v11 dst_sel:DWORD dst_unused:UNUSED_PAD src0_sel:DWORD src1_sel:WORD_1
	;; [unrolled: 1-line block ×8, first 2 shown]
	v_fma_f16 v58, v33, v9, -v58
	v_fmac_f16_e32 v40, v52, v9
	v_fma_f16 v57, v12, v10, -v65
	v_fma_f16 v12, v7, v2, -v69
	;; [unrolled: 1-line block ×3, first 2 shown]
	v_fmac_f16_e32 v15, v60, v26
	v_sub_f16_e32 v73, v59, v5
	v_sub_f16_e32 v78, v41, v28
	v_mul_f16_sdwa v38, v13, v11 dst_sel:DWORD dst_unused:UNUSED_PAD src0_sel:DWORD src1_sel:WORD_1
	v_fmac_f16_e32 v39, v61, v10
	v_fma_f16 v56, v13, v11, -v66
	v_fma_f16 v52, v32, v0, -v67
	;; [unrolled: 1-line block ×3, first 2 shown]
	v_fmac_f16_e32 v31, v63, v1
	v_fma_f16 v6, v25, v3, -v70
	v_fmac_f16_e32 v29, v24, v3
	v_add_f16_e32 v60, v59, v5
	v_add_f16_e32 v84, v41, v28
	v_sub_f16_e32 v76, v58, v7
	v_sub_f16_e32 v83, v40, v15
	v_mul_f16_e32 v63, 0xb853, v78
	v_mul_f16_e32 v67, 0xb853, v73
	;; [unrolled: 1-line block ×8, first 2 shown]
	v_mul_f16_sdwa v37, v32, v0 dst_sel:DWORD dst_unused:UNUSED_PAD src0_sel:DWORD src1_sel:WORD_1
	v_fmac_f16_e32 v38, v62, v11
	v_fmac_f16_e32 v30, v64, v2
	v_add_f16_e32 v72, v58, v7
	v_add_f16_e32 v93, v40, v15
	v_sub_f16_e32 v106, v39, v29
	v_sub_f16_e32 v90, v57, v6
	v_mul_f16_e32 v61, 0xbb47, v83
	v_mul_f16_e32 v65, 0xbb47, v76
	;; [unrolled: 1-line block ×8, first 2 shown]
	v_fmamk_f16 v16, v60, 0x3abb, v63
	v_fma_f16 v24, v84, 0x3abb, -v67
	v_fmamk_f16 v25, v60, 0x36a6, v82
	v_fma_f16 v32, v84, 0x36a6, -v88
	;; [unrolled: 2-line block ×4, first 2 shown]
	v_fmac_f16_e32 v37, v35, v0
	v_add_f16_e32 v81, v57, v6
	v_add_f16_e32 v114, v39, v29
	v_sub_f16_e32 v117, v38, v30
	v_sub_f16_e32 v98, v56, v12
	v_mul_f16_e32 v66, 0xbbeb, v106
	v_mul_f16_e32 v69, 0xbbeb, v90
	v_mul_f16_e32 v75, 0x3482, v106
	v_mul_f16_e32 v85, 0x3482, v90
	v_mul_f16_e32 v92, 0x3b47, v106
	v_mul_f16_e32 v102, 0x3b47, v90
	v_mul_f16_e32 v105, 0xb853, v106
	v_mul_f16_e32 v116, 0xb853, v90
	v_fmamk_f16 v33, v72, 0x36a6, v61
	v_fma_f16 v34, v93, 0x36a6, -v65
	v_fmamk_f16 v35, v72, 0xb93d, v80
	v_fma_f16 v36, v93, 0xb93d, -v86
	;; [unrolled: 2-line block ×4, first 2 shown]
	v_add_f16_e32 v16, v4, v16
	v_add_f16_sdwa v24, v4, v24 dst_sel:DWORD dst_unused:UNUSED_PAD src0_sel:WORD_1 src1_sel:DWORD
	v_add_f16_e32 v25, v4, v25
	v_add_f16_sdwa v32, v4, v32 dst_sel:DWORD dst_unused:UNUSED_PAD src0_sel:WORD_1 src1_sel:DWORD
	;; [unrolled: 2-line block ×4, first 2 shown]
	v_add_f16_e32 v91, v56, v12
	v_add_f16_e32 v110, v38, v30
	v_sub_f16_e32 v113, v37, v31
	v_sub_f16_e32 v109, v52, v13
	v_mul_f16_e32 v68, 0xba0c, v117
	v_mul_f16_e32 v70, 0xba0c, v98
	;; [unrolled: 1-line block ×8, first 2 shown]
	v_fmamk_f16 v128, v81, 0xb08e, v66
	v_fma_f16 v129, v114, 0xb08e, -v69
	v_fmamk_f16 v130, v81, 0xbbad, v75
	v_fma_f16 v131, v114, 0xbbad, -v85
	v_fmamk_f16 v132, v81, 0x36a6, v92
	v_fma_f16 v133, v114, 0x36a6, -v102
	v_fmamk_f16 v134, v81, 0x3abb, v105
	v_fma_f16 v135, v114, 0x3abb, -v116
	v_add_f16_e32 v16, v33, v16
	v_add_f16_e32 v24, v34, v24
	;; [unrolled: 1-line block ×10, first 2 shown]
	v_mul_f16_e32 v64, 0xb482, v113
	v_mul_f16_e32 v71, 0xb482, v109
	;; [unrolled: 1-line block ×8, first 2 shown]
	v_fmamk_f16 v136, v91, 0xb93d, v68
	v_fma_f16 v137, v110, 0xb93d, -v70
	v_fmamk_f16 v138, v91, 0xb08e, v74
	v_fma_f16 v139, v110, 0xb08e, -v87
	;; [unrolled: 2-line block ×4, first 2 shown]
	v_add_f16_e32 v16, v128, v16
	v_add_f16_e32 v24, v129, v24
	;; [unrolled: 1-line block ×8, first 2 shown]
	v_fmamk_f16 v144, v96, 0xbbad, v64
	v_fma_f16 v145, v112, 0xbbad, -v71
	v_fmamk_f16 v146, v96, 0x3abb, v62
	v_fma_f16 v147, v112, 0x3abb, -v77
	v_fmamk_f16 v148, v96, 0xb93d, v79
	v_fma_f16 v149, v112, 0xb93d, -v100
	v_fmamk_f16 v150, v96, 0x36a6, v107
	v_fma_f16 v151, v112, 0x36a6, -v119
	v_add_f16_e32 v16, v136, v16
	v_add_f16_e32 v24, v137, v24
	;; [unrolled: 1-line block ×16, first 2 shown]
	s_and_saveexec_b32 s1, s0
	s_cbranch_execz .LBB0_11
; %bb.10:
	v_mul_f16_e32 v121, 0x3abb, v84
	v_mul_f16_e32 v122, 0x36a6, v60
	;; [unrolled: 1-line block ×15, first 2 shown]
	v_fmamk_f16 v139, v73, 0x3482, v84
	v_mul_f16_e32 v93, 0x3abb, v93
	v_fmamk_f16 v147, v60, 0xbbad, v78
	v_mul_f16_e32 v83, 0x3853, v83
	v_fma_f16 v60, v60, 0xbbad, -v78
	v_sub_f16_e32 v82, v122, v82
	v_mul_f16_e32 v128, 0x36a6, v72
	v_mul_f16_e32 v132, 0xbbad, v72
	;; [unrolled: 1-line block ×4, first 2 shown]
	v_add_f16_sdwa v139, v4, v139 dst_sel:DWORD dst_unused:UNUSED_PAD src0_sel:WORD_1 src1_sel:DWORD
	v_fmamk_f16 v143, v76, 0xb853, v93
	v_mul_f16_e32 v144, 0xb93d, v114
	v_add_f16_e32 v147, v4, v147
	v_fmamk_f16 v149, v72, 0x3abb, v83
	v_mul_f16_e32 v106, 0xba0c, v106
	v_fma_f16 v72, v72, 0x3abb, -v83
	v_add_f16_e32 v60, v4, v60
	v_add_f16_e32 v82, v4, v82
	v_sub_f16_e32 v80, v130, v80
	v_add_f16_e32 v59, v4, v59
	v_add_f16_sdwa v41, v4, v41 dst_sel:DWORD dst_unused:UNUSED_PAD src0_sel:WORD_1 src1_sel:DWORD
	v_mul_f16_e32 v136, 0xb08e, v81
	v_mul_f16_e32 v141, 0x36a6, v81
	;; [unrolled: 1-line block ×3, first 2 shown]
	v_add_f16_e32 v139, v143, v139
	v_fmamk_f16 v143, v90, 0x3a0c, v144
	v_mul_f16_e32 v146, 0x36a6, v110
	v_add_f16_e32 v147, v149, v147
	v_fmamk_f16 v149, v81, 0xb93d, v106
	v_mul_f16_e32 v117, 0x3b47, v117
	v_mul_f16_e32 v151, 0xb08e, v91
	v_add_f16_e32 v60, v72, v60
	v_fma_f16 v81, v81, 0xb93d, -v106
	v_add_f16_e32 v80, v80, v82
	v_sub_f16_e32 v75, v138, v75
	v_add_f16_e32 v58, v59, v58
	v_add_f16_e32 v40, v41, v40
	;; [unrolled: 1-line block ×3, first 2 shown]
	v_fmamk_f16 v143, v98, 0xbb47, v146
	v_add_f16_e32 v60, v81, v60
	v_fma_f16 v81, v91, 0x36a6, -v117
	v_add_f16_e32 v59, v75, v80
	v_sub_f16_e32 v41, v151, v74
	v_add_f16_e32 v57, v58, v57
	v_add_f16_e32 v39, v40, v39
	;; [unrolled: 1-line block ×3, first 2 shown]
	v_mul_f16_e32 v143, 0xb08e, v112
	v_fmac_f16_e32 v84, 0xb482, v73
	v_add_f16_e32 v118, v118, v127
	v_add_f16_e32 v60, v81, v60
	v_sub_f16_e32 v81, v126, v108
	v_add_f16_e32 v104, v104, v125
	v_sub_f16_e32 v95, v124, v95
	v_add_f16_e32 v88, v88, v123
	v_add_f16_e32 v58, v67, v121
	;; [unrolled: 1-line block ×3, first 2 shown]
	v_sub_f16_e32 v41, v120, v63
	v_add_f16_e32 v56, v57, v56
	v_add_f16_e32 v38, v39, v38
	v_mul_f16_e32 v137, 0xb08e, v114
	v_fmamk_f16 v73, v109, 0x3beb, v143
	v_add_f16_sdwa v84, v4, v84 dst_sel:DWORD dst_unused:UNUSED_PAD src0_sel:WORD_1 src1_sel:DWORD
	v_fmac_f16_e32 v143, 0xbbeb, v109
	v_add_f16_sdwa v109, v4, v118 dst_sel:DWORD dst_unused:UNUSED_PAD src0_sel:WORD_1 src1_sel:DWORD
	v_add_f16_e32 v81, v4, v81
	v_add_f16_sdwa v104, v4, v104 dst_sel:DWORD dst_unused:UNUSED_PAD src0_sel:WORD_1 src1_sel:DWORD
	v_add_f16_e32 v95, v4, v95
	v_add_f16_sdwa v88, v4, v88 dst_sel:DWORD dst_unused:UNUSED_PAD src0_sel:WORD_1 src1_sel:DWORD
	v_add_f16_sdwa v57, v4, v58 dst_sel:DWORD dst_unused:UNUSED_PAD src0_sel:WORD_1 src1_sel:DWORD
	v_add_f16_e32 v39, v65, v129
	v_add_f16_e32 v4, v4, v41
	;; [unrolled: 1-line block ×4, first 2 shown]
	v_mul_f16_e32 v150, 0xb93d, v110
	v_sub_f16_e32 v52, v128, v61
	v_add_f16_e32 v38, v39, v57
	v_add_f16_e32 v39, v69, v137
	;; [unrolled: 1-line block ×5, first 2 shown]
	v_fmamk_f16 v149, v91, 0x36a6, v117
	v_mul_f16_e32 v113, 0xbbeb, v113
	v_mul_f16_e32 v140, 0xbbad, v114
	;; [unrolled: 1-line block ×4, first 2 shown]
	v_fmac_f16_e32 v93, 0x3853, v76
	v_add_f16_e32 v97, v97, v133
	v_sub_f16_e32 v94, v132, v94
	v_add_f16_e32 v86, v86, v131
	v_add_f16_e32 v4, v52, v4
	v_sub_f16_e32 v37, v136, v66
	v_add_f16_e32 v38, v39, v38
	v_add_f16_e32 v12, v13, v12
	;; [unrolled: 1-line block ×4, first 2 shown]
	v_mul_f16_e32 v114, 0x3abb, v114
	v_add_f16_e32 v147, v149, v147
	v_fmamk_f16 v106, v96, 0xb08e, v113
	v_add_f16_e32 v115, v115, v135
	v_sub_f16_e32 v101, v134, v101
	v_mul_f16_e32 v76, 0xb08e, v110
	v_add_f16_e32 v73, v73, v139
	v_mul_f16_e32 v139, 0x3abb, v91
	v_mul_f16_e32 v149, 0x3abb, v110
	v_add_f16_e32 v84, v93, v84
	v_mul_f16_e32 v78, 0xbbad, v96
	v_fmac_f16_e32 v144, 0xba0c, v90
	v_mul_f16_e32 v90, 0xbbad, v112
	v_add_f16_e32 v97, v97, v104
	v_add_f16_e32 v102, v102, v142
	;; [unrolled: 1-line block ×3, first 2 shown]
	v_sub_f16_e32 v92, v141, v92
	v_add_f16_e32 v86, v86, v88
	v_add_f16_e32 v85, v85, v140
	;; [unrolled: 1-line block ×3, first 2 shown]
	v_sub_f16_e32 v31, v148, v68
	v_add_f16_e32 v6, v12, v6
	v_add_f16_e32 v12, v13, v38
	v_add_f16_e32 v13, v30, v29
	v_mul_f16_e32 v93, 0xbbad, v91
	v_mul_f16_e32 v110, 0xbbad, v110
	v_add_f16_e32 v91, v106, v147
	v_add_f16_e32 v106, v115, v109
	;; [unrolled: 1-line block ×4, first 2 shown]
	v_sub_f16_e32 v101, v145, v105
	v_mul_f16_e32 v83, 0x3abb, v96
	v_add_f16_e32 v84, v144, v84
	v_mul_f16_e32 v144, 0x3abb, v112
	v_fmac_f16_e32 v146, 0x3b47, v98
	v_mul_f16_e32 v98, 0xb93d, v96
	v_mul_f16_e32 v72, 0xb93d, v112
	v_add_f16_e32 v97, v102, v97
	v_add_f16_e32 v99, v99, v149
	;; [unrolled: 1-line block ×3, first 2 shown]
	v_sub_f16_e32 v89, v139, v89
	v_add_f16_e32 v85, v85, v86
	v_add_f16_e32 v76, v87, v76
	;; [unrolled: 1-line block ×5, first 2 shown]
	v_mov_b32_e32 v7, 33
	v_add_f16_e32 v13, v13, v15
	v_sub_f16_e32 v15, v78, v64
	v_mul_f16_e32 v127, 0x36a6, v96
	v_mul_f16_e32 v112, 0x36a6, v112
	v_add_f16_e32 v106, v109, v106
	v_add_f16_e32 v108, v111, v110
	;; [unrolled: 1-line block ×3, first 2 shown]
	v_sub_f16_e32 v93, v93, v103
	v_add_f16_e32 v97, v99, v97
	v_add_f16_e32 v72, v100, v72
	;; [unrolled: 1-line block ×3, first 2 shown]
	v_sub_f16_e32 v79, v98, v79
	v_add_f16_e32 v76, v76, v85
	v_add_f16_e32 v74, v77, v144
	;; [unrolled: 1-line block ×4, first 2 shown]
	v_mul_u32_u24_sdwa v6, v51, v7 dst_sel:DWORD dst_unused:UNUSED_PAD src0_sel:WORD_0 src1_sel:DWORD
	v_add_f16_e32 v7, v13, v28
	v_add_f16_e32 v4, v15, v4
	v_sub_f16_e32 v13, v83, v62
	v_add_f16_e32 v84, v146, v84
	v_fma_f16 v96, v96, 0xb08e, -v113
	v_add_f16_e32 v106, v108, v106
	v_add_f16_e32 v108, v119, v112
	;; [unrolled: 1-line block ×3, first 2 shown]
	v_sub_f16_e32 v93, v127, v107
	v_add_f16_e32 v72, v72, v97
	v_add_f16_e32 v15, v74, v76
	v_add_lshl_u32 v6, v6, v50, 2
	v_pack_b32_f16 v5, v5, v7
	v_pack_b32_f16 v4, v4, v12
	v_add_f16_e32 v7, v13, v40
	v_add_f16_e32 v12, v79, v88
	;; [unrolled: 1-line block ×6, first 2 shown]
	ds_write2_b32 v6, v5, v4 offset1:3
	v_pack_b32_f16 v4, v7, v15
	v_pack_b32_f16 v5, v12, v72
	;; [unrolled: 1-line block ×5, first 2 shown]
	v_perm_b32 v15, v24, v16, 0x5040100
	v_perm_b32 v28, v36, v33, 0x5040100
	;; [unrolled: 1-line block ×4, first 2 shown]
	ds_write2_b32 v6, v4, v5 offset0:6 offset1:9
	ds_write2_b32 v6, v7, v12 offset0:12 offset1:15
	;; [unrolled: 1-line block ×4, first 2 shown]
	ds_write_b32 v6, v30 offset:120
.LBB0_11:
	s_or_b32 exec_lo, exec_lo, s1
	s_waitcnt lgkmcnt(0)
	s_barrier
	buffer_gl0_inv
	ds_read_b32 v37, v42
	ds_read_b32 v63, v42 offset:1056
	ds_read_b32 v62, v42 offset:2112
	;; [unrolled: 1-line block ×6, first 2 shown]
	v_cmp_gt_u16_e64 s1, 33, v47
                                        ; implicit-def: $vgpr38
                                        ; implicit-def: $vgpr58
                                        ; implicit-def: $vgpr40
                                        ; implicit-def: $vgpr61
                                        ; implicit-def: $vgpr39
                                        ; implicit-def: $vgpr64
	s_and_saveexec_b32 s4, s1
	s_cbranch_execz .LBB0_13
; %bb.12:
	ds_read_b32 v16, v42 offset:924
	ds_read_b32 v33, v42 offset:1980
	;; [unrolled: 1-line block ×7, first 2 shown]
	s_waitcnt lgkmcnt(6)
	v_lshrrev_b32_e32 v24, 16, v16
	s_waitcnt lgkmcnt(5)
	v_lshrrev_b32_e32 v36, 16, v33
	;; [unrolled: 2-line block ×7, first 2 shown]
.LBB0_13:
	s_or_b32 exec_lo, exec_lo, s4
	v_mul_lo_u16 v4, 0xf9, v14
	v_mov_b32_e32 v5, 0xf83f
	s_waitcnt lgkmcnt(5)
	v_lshrrev_b32_e32 v66, 16, v63
	s_waitcnt lgkmcnt(4)
	v_lshrrev_b32_e32 v67, 16, v62
	;; [unrolled: 2-line block ×3, first 2 shown]
	v_lshrrev_b16 v56, 13, v4
	v_mul_u32_u24_sdwa v5, v18, v5 dst_sel:DWORD dst_unused:UNUSED_PAD src0_sel:WORD_0 src1_sel:DWORD
	s_waitcnt lgkmcnt(2)
	v_lshrrev_b32_e32 v69, 16, v59
	s_waitcnt lgkmcnt(1)
	v_lshrrev_b32_e32 v70, 16, v57
	;; [unrolled: 2-line block ×3, first 2 shown]
	v_mul_lo_u16 v4, v56, 33
	v_lshrrev_b32_e32 v6, 21, v5
	v_sub_nc_u16 v4, v47, v4
	v_mul_lo_u16 v6, v6, 33
	v_and_b32_e32 v65, 0xff, v4
	v_sub_nc_u16 v52, v18, v6
	v_mov_b32_e32 v18, 0xe7
	v_mad_u64_u32 v[4:5], null, v65, 24, s[2:3]
	v_mul_lo_u16 v6, v52, 24
	v_mul_u32_u24_sdwa v18, v56, v18 dst_sel:DWORD dst_unused:UNUSED_PAD src0_sel:WORD_0 src1_sel:DWORD
	v_add_lshl_u32 v56, v18, v65, 2
	s_clause 0x1
	global_load_dwordx4 v[12:15], v[4:5], off offset:120
	global_load_dwordx2 v[30:31], v[4:5], off offset:136
	v_and_b32_e32 v4, 0xffff, v6
	v_add_co_u32 v28, s4, s2, v4
	v_add_co_ci_u32_e64 v29, null, s3, 0, s4
	s_clause 0x1
	global_load_dwordx4 v[4:7], v[28:29], off offset:120
	global_load_dwordx2 v[28:29], v[28:29], off offset:136
	s_waitcnt vmcnt(0)
	s_barrier
	buffer_gl0_inv
	v_mul_f16_sdwa v18, v66, v12 dst_sel:DWORD dst_unused:UNUSED_PAD src0_sel:DWORD src1_sel:WORD_1
	v_mul_f16_sdwa v65, v63, v12 dst_sel:DWORD dst_unused:UNUSED_PAD src0_sel:DWORD src1_sel:WORD_1
	;; [unrolled: 1-line block ×12, first 2 shown]
	v_fma_f16 v18, v63, v12, -v18
	v_fmac_f16_e32 v65, v66, v12
	v_fma_f16 v62, v62, v13, -v72
	v_fmac_f16_e32 v73, v67, v13
	v_fma_f16 v60, v60, v14, -v74
	v_fmac_f16_e32 v75, v68, v14
	v_fma_f16 v59, v59, v15, -v76
	v_fmac_f16_e32 v77, v69, v15
	v_fma_f16 v57, v57, v30, -v78
	v_fmac_f16_e32 v79, v70, v30
	v_fma_f16 v41, v41, v31, -v80
	v_fmac_f16_e32 v81, v71, v31
	v_mul_f16_sdwa v63, v36, v4 dst_sel:DWORD dst_unused:UNUSED_PAD src0_sel:DWORD src1_sel:WORD_1
	v_mul_f16_sdwa v66, v33, v4 dst_sel:DWORD dst_unused:UNUSED_PAD src0_sel:DWORD src1_sel:WORD_1
	;; [unrolled: 1-line block ×12, first 2 shown]
	v_add_f16_e32 v82, v18, v41
	v_add_f16_e32 v83, v65, v81
	v_sub_f16_e32 v18, v18, v41
	v_sub_f16_e32 v41, v65, v81
	v_add_f16_e32 v65, v62, v57
	v_add_f16_e32 v81, v73, v79
	v_sub_f16_e32 v57, v62, v57
	v_sub_f16_e32 v62, v73, v79
	v_add_f16_e32 v73, v60, v59
	v_sub_f16_e32 v59, v59, v60
	v_sub_f16_e32 v60, v77, v75
	v_fma_f16 v33, v33, v4, -v63
	v_fmac_f16_e32 v66, v36, v4
	v_fma_f16 v32, v32, v5, -v67
	v_fmac_f16_e32 v68, v35, v5
	;; [unrolled: 2-line block ×4, first 2 shown]
	v_add_f16_e32 v79, v75, v77
	v_fma_f16 v25, v25, v6, -v69
	v_fmac_f16_e32 v70, v34, v6
	v_fma_f16 v34, v39, v7, -v71
	v_fmac_f16_e32 v72, v64, v7
	v_add_f16_e32 v38, v65, v82
	v_add_f16_e32 v39, v81, v83
	v_sub_f16_e32 v61, v82, v73
	v_sub_f16_e32 v64, v73, v65
	v_add_f16_e32 v67, v59, v57
	v_sub_f16_e32 v71, v59, v57
	v_sub_f16_e32 v74, v60, v62
	;; [unrolled: 1-line block ×3, first 2 shown]
	v_add_f16_e32 v75, v33, v36
	v_add_f16_e32 v77, v66, v80
	v_sub_f16_e32 v33, v33, v36
	v_sub_f16_e32 v36, v66, v80
	v_add_f16_e32 v66, v32, v35
	v_add_f16_e32 v78, v68, v76
	v_sub_f16_e32 v40, v65, v82
	v_sub_f16_e32 v63, v83, v79
	;; [unrolled: 1-line block ×3, first 2 shown]
	v_add_f16_e32 v69, v60, v62
	v_sub_f16_e32 v59, v18, v59
	v_sub_f16_e32 v62, v62, v41
	;; [unrolled: 1-line block ×4, first 2 shown]
	v_add_f16_e32 v68, v25, v34
	v_add_f16_e32 v76, v70, v72
	v_sub_f16_e32 v25, v34, v25
	v_sub_f16_e32 v34, v72, v70
	v_add_f16_e32 v38, v73, v38
	v_add_f16_e32 v39, v79, v39
	;; [unrolled: 1-line block ×3, first 2 shown]
	v_mul_f16_e32 v61, 0x3a52, v61
	v_mul_f16_e32 v67, 0x2b26, v64
	;; [unrolled: 1-line block ×5, first 2 shown]
	v_add_f16_e32 v74, v66, v75
	v_add_f16_e32 v79, v78, v77
	v_sub_f16_e32 v58, v81, v83
	v_sub_f16_e32 v60, v41, v60
	v_add_f16_e32 v41, v69, v41
	v_mul_f16_e32 v63, 0x3a52, v63
	v_mul_f16_e32 v69, 0x2b26, v65
	v_mul_f16_e32 v73, 0x3b00, v62
	v_sub_f16_e32 v80, v66, v75
	v_sub_f16_e32 v81, v78, v77
	;; [unrolled: 1-line block ×6, first 2 shown]
	v_add_f16_e32 v82, v25, v32
	v_add_f16_e32 v83, v34, v35
	v_sub_f16_e32 v84, v25, v32
	v_sub_f16_e32 v85, v34, v35
	;; [unrolled: 1-line block ×4, first 2 shown]
	v_add_f16_e32 v86, v37, v38
	v_add_f16_sdwa v37, v37, v39 dst_sel:DWORD dst_unused:UNUSED_PAD src0_sel:WORD_1 src1_sel:DWORD
	v_fmamk_f16 v64, v64, 0x2b26, v61
	v_fma_f16 v67, v40, 0x39e0, -v67
	v_fma_f16 v40, v40, 0xb9e0, -v61
	v_fmamk_f16 v61, v59, 0x3574, v70
	v_fma_f16 v57, v57, 0x3b00, -v70
	v_fma_f16 v59, v59, 0xb574, -v72
	v_add_f16_e32 v68, v68, v74
	v_add_f16_e32 v70, v76, v79
	v_sub_f16_e32 v25, v33, v25
	v_sub_f16_e32 v34, v36, v34
	v_fmamk_f16 v65, v65, 0x2b26, v63
	v_fma_f16 v69, v58, 0x39e0, -v69
	v_fma_f16 v58, v58, 0xb9e0, -v63
	v_fmamk_f16 v63, v60, 0x3574, v71
	v_fma_f16 v62, v62, 0x3b00, -v71
	v_fma_f16 v60, v60, 0xb574, -v73
	v_mul_f16_e32 v71, 0x3a52, v75
	v_mul_f16_e32 v72, 0x3a52, v77
	;; [unrolled: 1-line block ×8, first 2 shown]
	v_fmamk_f16 v38, v38, 0xbcab, v86
	v_fmamk_f16 v39, v39, 0xbcab, v37
	v_fmac_f16_e32 v61, 0x370e, v18
	v_fmac_f16_e32 v57, 0x370e, v18
	;; [unrolled: 1-line block ×3, first 2 shown]
	v_add_f16_e32 v16, v16, v68
	v_add_f16_e32 v18, v24, v70
	;; [unrolled: 1-line block ×4, first 2 shown]
	v_fmac_f16_e32 v63, 0x370e, v41
	v_fmac_f16_e32 v62, 0x370e, v41
	;; [unrolled: 1-line block ×3, first 2 shown]
	v_fmamk_f16 v24, v66, 0x2b26, v71
	v_fmamk_f16 v41, v78, 0x2b26, v72
	v_fma_f16 v66, v80, 0x39e0, -v73
	v_fma_f16 v73, v81, 0x39e0, -v74
	;; [unrolled: 1-line block ×4, first 2 shown]
	v_fmamk_f16 v74, v25, 0x3574, v75
	v_fmamk_f16 v78, v34, 0x3574, v76
	v_fma_f16 v32, v32, 0x3b00, -v75
	v_fma_f16 v35, v35, 0x3b00, -v76
	;; [unrolled: 1-line block ×4, first 2 shown]
	v_add_f16_e32 v64, v64, v38
	v_add_f16_e32 v65, v65, v39
	;; [unrolled: 1-line block ×6, first 2 shown]
	v_fmamk_f16 v40, v68, 0xbcab, v16
	v_fmamk_f16 v58, v70, 0xbcab, v18
	v_fmac_f16_e32 v74, 0x370e, v33
	v_fmac_f16_e32 v78, 0x370e, v36
	;; [unrolled: 1-line block ×6, first 2 shown]
	v_add_f16_e32 v33, v63, v64
	v_sub_f16_e32 v36, v65, v61
	v_add_f16_e32 v68, v60, v38
	v_sub_f16_e32 v70, v39, v59
	v_sub_f16_e32 v75, v67, v62
	v_add_f16_e32 v76, v57, v69
	v_add_f16_e32 v62, v62, v67
	v_sub_f16_e32 v57, v69, v57
	v_sub_f16_e32 v38, v38, v60
	v_add_f16_e32 v39, v59, v39
	v_sub_f16_e32 v59, v64, v63
	v_add_f16_e32 v60, v61, v65
	v_add_f16_e32 v24, v24, v40
	;; [unrolled: 1-line block ×7, first 2 shown]
	v_pack_b32_f16 v37, v86, v37
	v_pack_b32_f16 v36, v33, v36
	;; [unrolled: 1-line block ×4, first 2 shown]
	v_add_f16_e32 v70, v78, v24
	v_sub_f16_e32 v71, v41, v74
	v_add_f16_e32 v33, v34, v40
	v_sub_f16_e32 v67, v58, v25
	v_sub_f16_e32 v68, v61, v35
	v_add_f16_e32 v69, v32, v63
	v_add_f16_e32 v61, v35, v61
	v_sub_f16_e32 v62, v63, v32
	v_sub_f16_e32 v63, v40, v34
	v_add_f16_e32 v64, v25, v58
	v_sub_f16_e32 v65, v24, v78
	v_add_f16_e32 v66, v74, v41
	v_pack_b32_f16 v73, v75, v76
	v_pack_b32_f16 v38, v38, v39
	;; [unrolled: 1-line block ×3, first 2 shown]
	ds_write2_b32 v56, v37, v36 offset1:33
	ds_write2_b32 v56, v72, v73 offset0:66 offset1:99
	ds_write2_b32 v56, v57, v38 offset0:132 offset1:165
	ds_write_b32 v56, v39 offset:792
	s_and_saveexec_b32 s4, s1
	s_cbranch_execz .LBB0_15
; %bb.14:
	v_mov_b32_e32 v24, 2
	v_perm_b32 v16, v18, v16, 0x5040100
	v_perm_b32 v18, v71, v70, 0x5040100
	;; [unrolled: 1-line block ×4, first 2 shown]
	v_lshlrev_b32_sdwa v24, v24, v52 dst_sel:DWORD dst_unused:UNUSED_PAD src0_sel:DWORD src1_sel:WORD_0
	v_perm_b32 v35, v62, v61, 0x5040100
	v_perm_b32 v36, v64, v63, 0x5040100
	;; [unrolled: 1-line block ×3, first 2 shown]
	v_add_nc_u32_e32 v34, 0x1800, v24
	ds_write2_b32 v34, v16, v18 offset0:81 offset1:114
	ds_write2_b32 v34, v25, v32 offset0:147 offset1:180
	;; [unrolled: 1-line block ×3, first 2 shown]
	ds_write_b32 v24, v37 offset:7260
.LBB0_15:
	s_or_b32 exec_lo, exec_lo, s4
	v_lshlrev_b32_e32 v32, 2, v17
	s_waitcnt lgkmcnt(0)
	s_barrier
	buffer_gl0_inv
	v_add_nc_u32_e32 v74, 0x700, v42
	global_load_dwordx3 v[16:18], v32, s[2:3] offset:912
	v_add_nc_u32_e32 v72, 0xe40, v42
	v_add_nc_u32_e32 v73, 0x1580, v42
	ds_read2_b32 v[24:25], v42 offset1:231
	ds_read2_b32 v[34:35], v74 offset0:14 offset1:245
	ds_read2_b32 v[36:37], v72 offset0:12 offset1:243
	;; [unrolled: 1-line block ×3, first 2 shown]
	v_lshlrev_b32_e32 v40, 3, v47
	v_add_co_u32 v32, s2, s2, v32
	v_add_co_ci_u32_e64 v41, null, s3, 0, s2
	s_waitcnt vmcnt(0) lgkmcnt(0)
	v_sub_co_u32 v32, s2, v32, v40
	v_subrev_co_ci_u32_e64 v58, s2, 0, v41, s2
	s_barrier
	v_add_co_u32 v40, s2, 0x800, v32
	v_add_co_ci_u32_e64 v41, s2, 0, v58, s2
	buffer_gl0_inv
	v_lshrrev_b32_e32 v60, 16, v34
	v_lshrrev_b32_e32 v75, 16, v36
	;; [unrolled: 1-line block ×8, first 2 shown]
	v_mul_f16_sdwa v80, v60, v16 dst_sel:DWORD dst_unused:UNUSED_PAD src0_sel:DWORD src1_sel:WORD_1
	v_mul_f16_sdwa v81, v34, v16 dst_sel:DWORD dst_unused:UNUSED_PAD src0_sel:DWORD src1_sel:WORD_1
	;; [unrolled: 1-line block ×12, first 2 shown]
	v_fma_f16 v34, v34, v16, -v80
	v_fmac_f16_e32 v81, v60, v16
	v_fma_f16 v36, v36, v17, -v82
	v_fmac_f16_e32 v83, v75, v17
	;; [unrolled: 2-line block ×6, first 2 shown]
	v_sub_f16_e32 v36, v24, v36
	v_sub_f16_e32 v60, v57, v83
	;; [unrolled: 1-line block ×8, first 2 shown]
	v_fma_f16 v24, v24, 2.0, -v36
	v_fma_f16 v57, v57, 2.0, -v60
	;; [unrolled: 1-line block ×8, first 2 shown]
	v_sub_f16_e32 v75, v36, v75
	v_add_f16_e32 v38, v60, v38
	v_sub_f16_e32 v34, v24, v34
	v_sub_f16_e32 v78, v57, v78
	;; [unrolled: 1-line block ×3, first 2 shown]
	v_add_f16_e32 v39, v76, v39
	v_sub_f16_e32 v35, v25, v35
	v_sub_f16_e32 v79, v59, v79
	v_fma_f16 v36, v36, 2.0, -v75
	v_fma_f16 v60, v60, 2.0, -v38
	;; [unrolled: 1-line block ×8, first 2 shown]
	v_pack_b32_f16 v36, v36, v60
	v_pack_b32_f16 v57, v24, v57
	;; [unrolled: 1-line block ×6, first 2 shown]
	v_add_co_u32 v24, s2, 0x1000, v32
	v_pack_b32_f16 v39, v77, v39
	v_pack_b32_f16 v35, v35, v79
	v_add_co_ci_u32_e64 v25, s2, 0, v58, s2
	ds_write2_b32 v42, v57, v36 offset1:231
	ds_write2_b32 v74, v34, v38 offset0:14 offset1:245
	ds_write2_b32 v72, v59, v37 offset0:12 offset1:243
	;; [unrolled: 1-line block ×3, first 2 shown]
	v_add_co_u32 v34, s2, 0x1800, v32
	v_add_co_ci_u32_e64 v35, s2, 0, v58, s2
	s_waitcnt lgkmcnt(0)
	s_barrier
	buffer_gl0_inv
	s_clause 0x3
	global_load_dword v57, v[40:41], off offset:1636
	global_load_dword v60, v[24:25], off offset:512
	;; [unrolled: 1-line block ×4, first 2 shown]
	ds_read2_b32 v[34:35], v42 offset1:231
	ds_read2_b32 v[36:37], v72 offset0:12 offset1:243
	ds_read2_b32 v[38:39], v74 offset0:14 offset1:245
	;; [unrolled: 1-line block ×3, first 2 shown]
	v_add_co_u32 v24, s2, 0x1800, v21
	v_add_co_ci_u32_e64 v25, s2, 0, v22, s2
	v_add_nc_u32_e32 v75, 0x1200, v42
	s_waitcnt lgkmcnt(3)
	v_lshrrev_b32_e32 v32, 16, v34
	s_waitcnt lgkmcnt(2)
	v_lshrrev_b32_e32 v72, 16, v36
	v_lshrrev_b32_e32 v73, 16, v37
	s_waitcnt lgkmcnt(0)
	v_lshrrev_b32_e32 v78, 16, v40
	v_lshrrev_b32_e32 v80, 16, v41
	;; [unrolled: 1-line block ×5, first 2 shown]
	s_waitcnt vmcnt(2)
	v_mul_f16_sdwa v83, v73, v60 dst_sel:DWORD dst_unused:UNUSED_PAD src0_sel:DWORD src1_sel:WORD_1
	v_mul_f16_sdwa v81, v72, v57 dst_sel:DWORD dst_unused:UNUSED_PAD src0_sel:DWORD src1_sel:WORD_1
	;; [unrolled: 1-line block ×4, first 2 shown]
	s_waitcnt vmcnt(1)
	v_mul_f16_sdwa v85, v78, v59 dst_sel:DWORD dst_unused:UNUSED_PAD src0_sel:DWORD src1_sel:WORD_1
	v_mul_f16_sdwa v86, v40, v59 dst_sel:DWORD dst_unused:UNUSED_PAD src0_sel:DWORD src1_sel:WORD_1
	s_waitcnt vmcnt(0)
	v_mul_f16_sdwa v87, v80, v58 dst_sel:DWORD dst_unused:UNUSED_PAD src0_sel:DWORD src1_sel:WORD_1
	v_mul_f16_sdwa v88, v41, v58 dst_sel:DWORD dst_unused:UNUSED_PAD src0_sel:DWORD src1_sel:WORD_1
	v_fma_f16 v36, v36, v57, -v81
	v_fmac_f16_e32 v82, v72, v57
	v_fma_f16 v37, v37, v60, -v83
	v_fmac_f16_e32 v84, v73, v60
	;; [unrolled: 2-line block ×4, first 2 shown]
	v_sub_f16_e32 v36, v34, v36
	v_sub_f16_e32 v78, v32, v82
	;; [unrolled: 1-line block ×8, first 2 shown]
	v_fma_f16 v34, v34, 2.0, -v36
	v_fma_f16 v41, v32, 2.0, -v78
	;; [unrolled: 1-line block ×8, first 2 shown]
	v_pack_b32_f16 v36, v36, v78
	v_pack_b32_f16 v34, v34, v41
	v_pack_b32_f16 v35, v35, v82
	v_pack_b32_f16 v37, v37, v80
	v_pack_b32_f16 v39, v40, v81
	v_pack_b32_f16 v38, v38, v77
	v_pack_b32_f16 v40, v32, v76
	v_pack_b32_f16 v41, v72, v73
	ds_write_b32 v42, v36 offset:3696
	ds_write2_b32 v42, v34, v35 offset1:231
	ds_write2_b32 v75, v37, v39 offset0:3 offset1:234
	ds_write2_b32 v74, v38, v40 offset0:14 offset1:245
	ds_write_b32 v42, v41 offset:6468
	s_waitcnt lgkmcnt(0)
	s_barrier
	buffer_gl0_inv
	global_load_dword v40, v[24:25], off offset:1248
	v_add_co_u32 v36, s2, 0x3000, v21
	v_add_co_ci_u32_e64 v37, s2, 0, v22, s2
	v_add_co_u32 v34, s2, 0x1ce0, v21
	v_add_co_ci_u32_e64 v35, s2, 0, v22, s2
	s_clause 0x2
	global_load_dword v77, v[36:37], off offset:32
	global_load_dword v78, v[36:37], off offset:956
	;; [unrolled: 1-line block ×3, first 2 shown]
	v_add_co_u32 v36, s2, 0x2000, v21
	v_add_co_ci_u32_e64 v37, s2, 0, v22, s2
	v_add_co_u32 v38, s2, 0x2800, v21
	v_add_co_ci_u32_e64 v39, s2, 0, v22, s2
	s_clause 0x1
	global_load_dword v80, v[36:37], off offset:1664
	global_load_dword v81, v[38:39], off offset:540
	ds_read2_b32 v[36:37], v42 offset1:231
	s_waitcnt lgkmcnt(0)
	v_lshrrev_b32_e32 v38, 16, v36
	s_waitcnt vmcnt(5)
	v_mul_f16_sdwa v39, v38, v40 dst_sel:DWORD dst_unused:UNUSED_PAD src0_sel:DWORD src1_sel:WORD_1
	v_mul_f16_sdwa v41, v36, v40 dst_sel:DWORD dst_unused:UNUSED_PAD src0_sel:DWORD src1_sel:WORD_1
	v_fma_f16 v36, v36, v40, -v39
	v_fmac_f16_e32 v41, v38, v40
	v_lshrrev_b32_e32 v40, 16, v37
	s_waitcnt vmcnt(2)
	v_mul_f16_sdwa v83, v37, v79 dst_sel:DWORD dst_unused:UNUSED_PAD src0_sel:DWORD src1_sel:WORD_1
	v_pack_b32_f16 v38, v36, v41
	v_add_nc_u32_e32 v36, 0x980, v42
	v_add_nc_u32_e32 v41, 0x1300, v42
	v_mul_f16_sdwa v82, v40, v79 dst_sel:DWORD dst_unused:UNUSED_PAD src0_sel:DWORD src1_sel:WORD_1
	v_fmac_f16_e32 v83, v40, v79
	ds_write_b32 v42, v38
	ds_read2_b32 v[38:39], v36 offset0:8 offset1:239
	ds_read2_b32 v[74:75], v41 offset0:16 offset1:247
	v_fma_f16 v37, v37, v79, -v82
	v_pack_b32_f16 v37, v37, v83
	s_waitcnt lgkmcnt(1)
	v_lshrrev_b32_e32 v40, 16, v38
	s_waitcnt vmcnt(1)
	v_mul_f16_sdwa v79, v38, v80 dst_sel:DWORD dst_unused:UNUSED_PAD src0_sel:DWORD src1_sel:WORD_1
	s_waitcnt lgkmcnt(0)
	v_lshrrev_b32_e32 v82, 16, v74
	v_mul_f16_sdwa v84, v74, v77 dst_sel:DWORD dst_unused:UNUSED_PAD src0_sel:DWORD src1_sel:WORD_1
	v_lshrrev_b32_e32 v85, 16, v39
	s_waitcnt vmcnt(0)
	v_mul_f16_sdwa v86, v39, v81 dst_sel:DWORD dst_unused:UNUSED_PAD src0_sel:DWORD src1_sel:WORD_1
	v_lshrrev_b32_e32 v87, 16, v75
	v_mul_f16_sdwa v89, v40, v80 dst_sel:DWORD dst_unused:UNUSED_PAD src0_sel:DWORD src1_sel:WORD_1
	v_fmac_f16_e32 v79, v40, v80
	v_mul_f16_sdwa v40, v82, v77 dst_sel:DWORD dst_unused:UNUSED_PAD src0_sel:DWORD src1_sel:WORD_1
	v_fmac_f16_e32 v84, v82, v77
	v_mul_f16_sdwa v82, v85, v81 dst_sel:DWORD dst_unused:UNUSED_PAD src0_sel:DWORD src1_sel:WORD_1
	v_mul_f16_sdwa v88, v75, v78 dst_sel:DWORD dst_unused:UNUSED_PAD src0_sel:DWORD src1_sel:WORD_1
	v_fmac_f16_e32 v86, v85, v81
	v_mul_f16_sdwa v85, v87, v78 dst_sel:DWORD dst_unused:UNUSED_PAD src0_sel:DWORD src1_sel:WORD_1
	v_fma_f16 v38, v38, v80, -v89
	v_fma_f16 v39, v39, v81, -v82
	v_fmac_f16_e32 v88, v87, v78
	v_fma_f16 v40, v74, v77, -v40
	v_fma_f16 v74, v75, v78, -v85
	v_pack_b32_f16 v38, v38, v79
	v_pack_b32_f16 v39, v39, v86
	;; [unrolled: 1-line block ×4, first 2 shown]
	ds_write_b32 v42, v37 offset:924
	ds_write2_b32 v36, v38, v39 offset0:8 offset1:239
	ds_write2_b32 v41, v40, v74 offset0:16 offset1:247
	s_and_saveexec_b32 s3, vcc_lo
	s_cbranch_execz .LBB0_17
; %bb.16:
	v_add_co_u32 v37, s2, 0x1000, v34
	v_add_co_ci_u32_e64 v38, s2, 0, v35, s2
	global_load_dword v39, v[34:35], off offset:1848
	v_add_co_u32 v34, s2, 0x1800, v34
	v_add_co_ci_u32_e64 v35, s2, 0, v35, s2
	s_clause 0x1
	global_load_dword v37, v[37:38], off offset:216
	global_load_dword v34, v[34:35], off offset:632
	ds_read_b32 v35, v42 offset:1848
	ds_read_b32 v38, v42 offset:4312
	;; [unrolled: 1-line block ×3, first 2 shown]
	s_waitcnt lgkmcnt(2)
	v_lshrrev_b32_e32 v74, 16, v35
	s_waitcnt lgkmcnt(1)
	v_lshrrev_b32_e32 v77, 16, v38
	;; [unrolled: 2-line block ×3, first 2 shown]
	s_waitcnt vmcnt(2)
	v_mul_f16_sdwa v75, v74, v39 dst_sel:DWORD dst_unused:UNUSED_PAD src0_sel:DWORD src1_sel:WORD_1
	v_mul_f16_sdwa v79, v35, v39 dst_sel:DWORD dst_unused:UNUSED_PAD src0_sel:DWORD src1_sel:WORD_1
	v_fma_f16 v35, v35, v39, -v75
	s_waitcnt vmcnt(1)
	v_mul_f16_sdwa v75, v77, v37 dst_sel:DWORD dst_unused:UNUSED_PAD src0_sel:DWORD src1_sel:WORD_1
	v_mul_f16_sdwa v80, v38, v37 dst_sel:DWORD dst_unused:UNUSED_PAD src0_sel:DWORD src1_sel:WORD_1
	s_waitcnt vmcnt(0)
	v_mul_f16_sdwa v81, v78, v34 dst_sel:DWORD dst_unused:UNUSED_PAD src0_sel:DWORD src1_sel:WORD_1
	v_mul_f16_sdwa v82, v40, v34 dst_sel:DWORD dst_unused:UNUSED_PAD src0_sel:DWORD src1_sel:WORD_1
	v_fmac_f16_e32 v79, v74, v39
	v_fma_f16 v38, v38, v37, -v75
	v_fmac_f16_e32 v80, v77, v37
	v_fma_f16 v37, v40, v34, -v81
	v_fmac_f16_e32 v82, v78, v34
	v_pack_b32_f16 v34, v35, v79
	v_pack_b32_f16 v35, v38, v80
	;; [unrolled: 1-line block ×3, first 2 shown]
	ds_write_b32 v42, v34 offset:1848
	ds_write_b32 v42, v35 offset:4312
	;; [unrolled: 1-line block ×3, first 2 shown]
.LBB0_17:
	s_or_b32 exec_lo, exec_lo, s3
	s_waitcnt lgkmcnt(0)
	s_barrier
	buffer_gl0_inv
	ds_read2_b32 v[37:38], v42 offset1:231
	ds_read2_b32 v[39:40], v36 offset0:8 offset1:239
	ds_read2_b32 v[35:36], v41 offset0:16 offset1:247
	s_and_saveexec_b32 s2, vcc_lo
	s_cbranch_execz .LBB0_19
; %bb.18:
	ds_read_b32 v32, v42 offset:1848
	ds_read_b32 v72, v42 offset:4312
	ds_read_b32 v70, v42 offset:6776
	s_waitcnt lgkmcnt(2)
	v_lshrrev_b32_e32 v76, 16, v32
	s_waitcnt lgkmcnt(1)
	v_lshrrev_b32_e32 v73, 16, v72
	s_waitcnt lgkmcnt(0)
	v_lshrrev_b32_e32 v71, 16, v70
.LBB0_19:
	s_or_b32 exec_lo, exec_lo, s2
	s_waitcnt lgkmcnt(0)
	v_pk_add_f16 v34, v39, v35
	v_pk_add_f16 v41, v39, v35 neg_lo:[0,1] neg_hi:[0,1]
	v_pk_add_f16 v39, v37, v39
	v_pk_add_f16 v74, v40, v36
	v_pk_add_f16 v75, v40, v36 neg_lo:[0,1] neg_hi:[0,1]
	v_pk_fma_f16 v78, v34, 0.5, v37 op_sel_hi:[1,0,1] neg_lo:[1,0,0] neg_hi:[1,0,0]
	v_pk_add_f16 v37, v38, v40
	v_pk_add_f16 v34, v39, v35
	v_add_f16_e32 v39, v70, v72
	v_pk_mul_f16 v79, 0x3aee, v41 op_sel_hi:[0,1]
	v_add_f16_e32 v40, v73, v76
	v_pk_add_f16 v41, v37, v36
	v_add_f16_e32 v36, v71, v73
	v_pk_fma_f16 v80, v74, 0.5, v38 op_sel_hi:[1,0,1] neg_lo:[1,0,0] neg_hi:[1,0,0]
	v_pk_mul_f16 v75, 0x3aee, v75 op_sel_hi:[0,1]
	v_add_f16_e32 v37, v72, v32
	v_fmac_f16_e32 v32, -0.5, v39
	v_sub_f16_e32 v39, v73, v71
	v_fmac_f16_e32 v76, -0.5, v36
	v_sub_f16_e32 v72, v72, v70
	v_pk_add_f16 v35, v78, v79 op_sel:[0,1] op_sel_hi:[1,0] neg_lo:[0,1] neg_hi:[0,1]
	v_add_f16_e32 v74, v71, v40
	v_pk_add_f16 v40, v78, v79 op_sel:[0,1] op_sel_hi:[1,0]
	v_pk_add_f16 v38, v80, v75 op_sel:[0,1] op_sel_hi:[1,0] neg_lo:[0,1] neg_hi:[0,1]
	v_add_f16_e32 v36, v70, v37
	v_fmamk_f16 v37, v39, 0xbaee, v32
	v_fmac_f16_e32 v32, 0x3aee, v39
	v_pk_add_f16 v39, v80, v75 op_sel:[0,1] op_sel_hi:[1,0]
	v_fmamk_f16 v77, v72, 0x3aee, v76
	v_fmac_f16_e32 v76, 0xbaee, v72
	v_bfi_b32 v70, 0xffff, v40, v35
	v_bfi_b32 v71, 0xffff, v35, v40
	;; [unrolled: 1-line block ×4, first 2 shown]
	s_barrier
	buffer_gl0_inv
	ds_write_b32 v54, v34
	ds_write2_b32 v54, v71, v70 offset0:1 offset1:2
	ds_write_b32 v55, v41
	ds_write2_b32 v55, v73, v72 offset0:1 offset1:2
	s_and_saveexec_b32 s2, vcc_lo
	s_cbranch_execz .LBB0_21
; %bb.20:
	v_lshlrev_b32_e32 v53, 2, v53
	v_perm_b32 v54, v77, v37, 0x5040100
	v_perm_b32 v55, v74, v36, 0x5040100
	;; [unrolled: 1-line block ×3, first 2 shown]
	ds_write2_b32 v53, v55, v54 offset1:1
	ds_write_b32 v53, v70 offset:8
.LBB0_21:
	s_or_b32 exec_lo, exec_lo, s2
	v_lshrrev_b32_e32 v70, 16, v35
	v_lshrrev_b32_e32 v73, 16, v38
	;; [unrolled: 1-line block ×4, first 2 shown]
	s_waitcnt lgkmcnt(0)
	s_barrier
	buffer_gl0_inv
	s_and_saveexec_b32 s2, s0
	s_cbranch_execz .LBB0_23
; %bb.22:
	v_add_nc_u32_e32 v32, 0x400, v42
	v_add_nc_u32_e32 v33, 0xa00, v42
	;; [unrolled: 1-line block ×4, first 2 shown]
	ds_read2_b32 v[34:35], v42 offset1:168
	ds_read2_b32 v[40:41], v32 offset0:80 offset1:248
	ds_read2_b32 v[38:39], v33 offset0:32 offset1:200
	;; [unrolled: 1-line block ×4, first 2 shown]
	ds_read_b32 v68, v42 offset:6720
	s_waitcnt lgkmcnt(4)
	v_lshrrev_b32_e32 v70, 16, v40
	s_waitcnt lgkmcnt(3)
	v_lshrrev_b32_e32 v72, 16, v38
	v_lshrrev_b32_e32 v73, 16, v39
	;; [unrolled: 1-line block ×3, first 2 shown]
	s_waitcnt lgkmcnt(2)
	v_lshrrev_b32_e32 v74, 16, v36
	v_lshrrev_b32_e32 v77, 16, v37
	s_waitcnt lgkmcnt(1)
	v_lshrrev_b32_e32 v76, 16, v32
	v_lshrrev_b32_e32 v67, 16, v33
	s_waitcnt lgkmcnt(0)
	v_lshrrev_b32_e32 v69, 16, v68
.LBB0_23:
	s_or_b32 exec_lo, exec_lo, s2
	v_mul_f16_sdwa v54, v8, v55 dst_sel:DWORD dst_unused:UNUSED_PAD src0_sel:WORD_1 src1_sel:DWORD
	v_mul_f16_sdwa v71, v8, v35 dst_sel:DWORD dst_unused:UNUSED_PAD src0_sel:WORD_1 src1_sel:DWORD
	;; [unrolled: 1-line block ×3, first 2 shown]
	v_lshrrev_b32_e32 v75, 16, v41
	v_fmac_f16_e32 v54, v8, v35
	v_fma_f16 v55, v8, v55, -v71
	v_mul_f16_sdwa v8, v9, v40 dst_sel:DWORD dst_unused:UNUSED_PAD src0_sel:WORD_1 src1_sel:DWORD
	v_fmac_f16_e32 v53, v9, v40
	v_mul_f16_sdwa v40, v11, v72 dst_sel:DWORD dst_unused:UNUSED_PAD src0_sel:WORD_1 src1_sel:DWORD
	v_mul_f16_sdwa v35, v10, v75 dst_sel:DWORD dst_unused:UNUSED_PAD src0_sel:WORD_1 src1_sel:DWORD
	;; [unrolled: 1-line block ×3, first 2 shown]
	v_fma_f16 v70, v9, v70, -v8
	v_mul_f16_sdwa v8, v11, v38 dst_sel:DWORD dst_unused:UNUSED_PAD src0_sel:WORD_1 src1_sel:DWORD
	v_fmac_f16_e32 v40, v11, v38
	v_mul_f16_sdwa v38, v0, v73 dst_sel:DWORD dst_unused:UNUSED_PAD src0_sel:WORD_1 src1_sel:DWORD
	v_mul_f16_sdwa v9, v0, v39 dst_sel:DWORD dst_unused:UNUSED_PAD src0_sel:WORD_1 src1_sel:DWORD
	v_fmac_f16_e32 v35, v10, v41
	v_fma_f16 v72, v11, v72, -v8
	v_mul_f16_sdwa v41, v1, v74 dst_sel:DWORD dst_unused:UNUSED_PAD src0_sel:WORD_1 src1_sel:DWORD
	v_mul_f16_sdwa v8, v1, v36 dst_sel:DWORD dst_unused:UNUSED_PAD src0_sel:WORD_1 src1_sel:DWORD
	v_fmac_f16_e32 v38, v0, v39
	v_fma_f16 v73, v0, v73, -v9
	v_mul_f16_sdwa v0, v27, v68 dst_sel:DWORD dst_unused:UNUSED_PAD src0_sel:WORD_1 src1_sel:DWORD
	v_mul_f16_sdwa v39, v27, v69 dst_sel:DWORD dst_unused:UNUSED_PAD src0_sel:WORD_1 src1_sel:DWORD
	v_fma_f16 v71, v10, v75, -v71
	v_fmac_f16_e32 v41, v1, v36
	v_fma_f16 v75, v1, v74, -v8
	v_fma_f16 v36, v27, v69, -v0
	v_fmac_f16_e32 v39, v27, v68
	v_mul_f16_sdwa v27, v26, v67 dst_sel:DWORD dst_unused:UNUSED_PAD src0_sel:WORD_1 src1_sel:DWORD
	v_mul_f16_sdwa v1, v26, v33 dst_sel:DWORD dst_unused:UNUSED_PAD src0_sel:WORD_1 src1_sel:DWORD
	;; [unrolled: 1-line block ×4, first 2 shown]
	v_sub_f16_e32 v101, v55, v36
	v_fmac_f16_e32 v27, v26, v33
	v_fma_f16 v26, v26, v67, -v1
	v_mul_f16_sdwa v69, v3, v76 dst_sel:DWORD dst_unused:UNUSED_PAD src0_sel:WORD_1 src1_sel:DWORD
	v_fmac_f16_e32 v74, v2, v37
	v_fma_f16 v37, v2, v77, -v0
	v_mul_f16_sdwa v0, v3, v32 dst_sel:DWORD dst_unused:UNUSED_PAD src0_sel:WORD_1 src1_sel:DWORD
	v_add_f16_e32 v93, v39, v54
	v_mul_f16_e32 v68, 0xb853, v101
	v_add_f16_e32 v98, v36, v55
	v_sub_f16_e32 v113, v70, v26
	v_fmac_f16_e32 v69, v3, v32
	v_fma_f16 v32, v3, v76, -v0
	v_fma_f16 v0, v93, 0x3abb, -v68
	v_sub_f16_e32 v112, v54, v39
	v_mul_f16_e32 v33, 0x3abb, v98
	v_mul_f16_e32 v80, 0x36a6, v98
	v_add_f16_e32 v108, v26, v70
	v_add_f16_e32 v102, v27, v53
	v_mul_f16_e32 v67, 0xbb47, v113
	v_add_f16_e32 v0, v34, v0
	v_mul_f16_e32 v77, 0xbb47, v101
	v_mul_f16_e32 v81, 0xbbeb, v101
	v_fmamk_f16 v1, v112, 0xb853, v33
	v_fmamk_f16 v3, v112, 0xbb47, v80
	v_mul_f16_e32 v88, 0xba0c, v101
	v_sub_f16_e32 v119, v53, v27
	v_mul_f16_e32 v76, 0x36a6, v108
	v_fma_f16 v78, v102, 0x36a6, -v67
	v_mul_f16_e32 v87, 0xb93d, v108
	v_mul_f16_e32 v86, 0xb08e, v98
	v_fma_f16 v2, v93, 0x36a6, -v77
	v_fma_f16 v8, v93, 0xb08e, -v81
	v_add_f16_sdwa v1, v34, v1 dst_sel:DWORD dst_unused:UNUSED_PAD src0_sel:WORD_1 src1_sel:DWORD
	v_add_f16_sdwa v3, v34, v3 dst_sel:DWORD dst_unused:UNUSED_PAD src0_sel:WORD_1 src1_sel:DWORD
	v_mul_f16_e32 v100, 0xb93d, v98
	v_fma_f16 v10, v93, 0xb93d, -v88
	v_mul_f16_e32 v82, 0xba0c, v113
	v_fmamk_f16 v79, v119, 0xbb47, v76
	v_add_f16_e32 v0, v78, v0
	v_mul_f16_e32 v89, 0x3482, v113
	v_fmamk_f16 v78, v119, 0xba0c, v87
	v_mul_f16_e32 v99, 0x3beb, v113
	v_fmamk_f16 v9, v112, 0xbbeb, v86
	v_add_f16_e32 v2, v34, v2
	v_add_f16_e32 v8, v34, v8
	v_fmamk_f16 v11, v112, 0xba0c, v100
	v_add_f16_e32 v10, v34, v10
	v_fma_f16 v83, v102, 0xb93d, -v82
	v_add_f16_e32 v1, v79, v1
	v_mul_f16_e32 v96, 0xbbad, v108
	v_fma_f16 v79, v102, 0xbbad, -v89
	v_mul_f16_e32 v105, 0xb08e, v108
	v_add_f16_e32 v3, v78, v3
	v_fma_f16 v78, v102, 0xb08e, -v99
	v_sub_f16_e32 v121, v71, v32
	v_add_f16_sdwa v9, v34, v9 dst_sel:DWORD dst_unused:UNUSED_PAD src0_sel:WORD_1 src1_sel:DWORD
	v_add_f16_sdwa v11, v34, v11 dst_sel:DWORD dst_unused:UNUSED_PAD src0_sel:WORD_1 src1_sel:DWORD
	v_add_f16_e32 v2, v83, v2
	v_fmamk_f16 v83, v119, 0x3482, v96
	v_add_f16_e32 v8, v79, v8
	v_fmamk_f16 v79, v119, 0x3beb, v105
	v_add_f16_e32 v10, v78, v10
	v_add_f16_e32 v115, v32, v71
	;; [unrolled: 1-line block ×3, first 2 shown]
	v_mul_f16_e32 v78, 0xbbeb, v121
	v_add_f16_e32 v9, v83, v9
	v_add_f16_e32 v11, v79, v11
	v_sub_f16_e32 v127, v35, v69
	v_mul_f16_e32 v79, 0xb08e, v115
	v_fma_f16 v83, v110, 0xb08e, -v78
	v_mul_f16_e32 v97, 0x3b47, v121
	v_mul_f16_e32 v84, 0x3482, v121
	;; [unrolled: 1-line block ×3, first 2 shown]
	v_fmamk_f16 v85, v127, 0xbbeb, v79
	v_add_f16_e32 v0, v83, v0
	v_fma_f16 v83, v110, 0x36a6, -v97
	v_mul_f16_e32 v109, 0x36a6, v115
	v_sub_f16_e32 v126, v72, v37
	v_add_f16_e32 v124, v37, v72
	v_fma_f16 v90, v110, 0xbbad, -v84
	v_fmamk_f16 v91, v127, 0x3482, v94
	v_add_f16_e32 v1, v85, v1
	v_add_f16_e32 v8, v83, v8
	v_mul_f16_e32 v111, 0xb853, v121
	v_fmamk_f16 v85, v127, 0x3b47, v109
	v_add_f16_e32 v118, v74, v40
	v_mul_f16_e32 v83, 0xba0c, v126
	v_sub_f16_e32 v131, v40, v74
	v_mul_f16_e32 v103, 0xb08e, v124
	v_add_f16_e32 v2, v90, v2
	v_add_f16_e32 v3, v91, v3
	v_mul_f16_e32 v117, 0x3abb, v115
	v_fma_f16 v90, v110, 0x3abb, -v111
	v_add_f16_e32 v9, v85, v9
	v_fma_f16 v92, v118, 0xb93d, -v83
	v_mul_f16_e32 v85, 0xb93d, v124
	v_mul_f16_e32 v106, 0xb853, v126
	v_fmamk_f16 v95, v131, 0x3beb, v103
	v_add_f16_e32 v129, v75, v73
	v_fmamk_f16 v91, v127, 0xb853, v117
	v_add_f16_e32 v10, v90, v10
	v_add_f16_e32 v0, v92, v0
	v_mul_f16_e32 v92, 0x3beb, v126
	v_mul_f16_e32 v114, 0x3abb, v124
	v_fmamk_f16 v90, v131, 0xba0c, v85
	v_fma_f16 v104, v118, 0x3abb, -v106
	v_add_f16_e32 v3, v95, v3
	v_sub_f16_e32 v130, v73, v75
	v_mul_f16_e32 v123, 0xbbad, v124
	v_sub_f16_e32 v132, v38, v41
	v_mul_f16_e32 v95, 0xbbad, v129
	v_add_f16_e32 v11, v91, v11
	v_fma_f16 v91, v118, 0xb08e, -v92
	v_fmamk_f16 v107, v131, 0xb853, v114
	v_add_f16_e32 v120, v90, v1
	v_add_f16_e32 v133, v104, v8
	v_mul_f16_e32 v116, 0xb482, v126
	v_add_f16_e32 v125, v41, v38
	v_mul_f16_e32 v90, 0xb482, v130
	v_fmamk_f16 v8, v131, 0xb482, v123
	v_fmamk_f16 v104, v132, 0xb482, v95
	v_add_f16_e32 v2, v91, v2
	v_add_f16_e32 v134, v107, v9
	v_fma_f16 v1, v118, 0xbbad, -v116
	v_mul_f16_e32 v91, 0x3853, v130
	v_fma_f16 v9, v125, 0xbbad, -v90
	v_add_f16_e32 v136, v8, v11
	v_add_f16_e32 v8, v104, v120
	v_mul_f16_e32 v104, 0x3abb, v129
	v_mul_f16_e32 v107, 0xba0c, v130
	;; [unrolled: 1-line block ×5, first 2 shown]
	v_add_f16_e32 v135, v1, v10
	v_fma_f16 v10, v125, 0x3abb, -v91
	v_add_f16_e32 v1, v9, v0
	v_fmamk_f16 v0, v132, 0x3853, v104
	v_fma_f16 v9, v125, 0xb93d, -v107
	v_fmamk_f16 v11, v132, 0xba0c, v120
	v_fma_f16 v137, v125, 0x36a6, -v122
	v_fmamk_f16 v138, v132, 0x3b47, v128
	v_add_f16_e32 v2, v10, v2
	v_add_f16_e32 v10, v0, v3
	;; [unrolled: 1-line block ×6, first 2 shown]
	s_barrier
	buffer_gl0_inv
	s_and_saveexec_b32 s2, s0
	s_cbranch_execz .LBB0_25
; %bb.24:
	v_add_f16_e32 v54, v34, v54
	v_add_f16_sdwa v55, v55, v34 dst_sel:DWORD dst_unused:UNUSED_PAD src0_sel:DWORD src1_sel:WORD_1
	v_mul_f16_e32 v134, 0xb853, v112
	v_mul_f16_e32 v136, 0xbb47, v112
	;; [unrolled: 1-line block ×3, first 2 shown]
	v_add_f16_e32 v53, v53, v54
	v_add_f16_e32 v55, v70, v55
	v_mul_f16_e32 v140, 0xba0c, v112
	v_mul_f16_e32 v112, 0xb482, v112
	;; [unrolled: 1-line block ×7, first 2 shown]
	v_add_f16_e32 v35, v35, v53
	v_add_f16_e32 v53, v71, v55
	v_mul_f16_e32 v142, 0xbb47, v119
	v_mul_f16_e32 v144, 0xba0c, v119
	;; [unrolled: 1-line block ×4, first 2 shown]
	v_fmamk_f16 v166, v98, 0xbbad, v112
	v_mul_f16_e32 v119, 0x3853, v119
	v_fma_f16 v98, v98, 0xbbad, -v112
	v_mul_f16_e32 v141, 0x36a6, v102
	v_fma_f16 v174, v93, 0xbbad, -v101
	v_fmac_f16_e32 v101, 0xbbad, v93
	v_sub_f16_e32 v100, v100, v140
	v_add_f16_e32 v88, v139, v88
	v_sub_f16_e32 v86, v86, v138
	v_add_f16_e32 v81, v137, v81
	;; [unrolled: 2-line block ×4, first 2 shown]
	v_add_f16_e32 v35, v40, v35
	v_add_f16_e32 v40, v72, v53
	v_mul_f16_e32 v150, 0xbbeb, v127
	v_mul_f16_e32 v152, 0x3482, v127
	;; [unrolled: 1-line block ×4, first 2 shown]
	v_add_f16_sdwa v166, v34, v166 dst_sel:DWORD dst_unused:UNUSED_PAD src0_sel:WORD_1 src1_sel:DWORD
	v_fmamk_f16 v170, v108, 0x3abb, v119
	v_mul_f16_e32 v127, 0xba0c, v127
	v_add_f16_sdwa v98, v34, v98 dst_sel:DWORD dst_unused:UNUSED_PAD src0_sel:WORD_1 src1_sel:DWORD
	v_fma_f16 v108, v108, 0x3abb, -v119
	v_add_f16_e32 v174, v34, v174
	v_add_f16_e32 v101, v34, v101
	v_add_f16_sdwa v100, v34, v100 dst_sel:DWORD dst_unused:UNUSED_PAD src0_sel:WORD_1 src1_sel:DWORD
	v_add_f16_e32 v88, v34, v88
	v_add_f16_sdwa v86, v34, v86 dst_sel:DWORD dst_unused:UNUSED_PAD src0_sel:WORD_1 src1_sel:DWORD
	;; [unrolled: 2-line block ×4, first 2 shown]
	v_add_f16_e32 v34, v34, v55
	v_add_f16_e32 v35, v38, v35
	;; [unrolled: 1-line block ×4, first 2 shown]
	v_mul_f16_e32 v158, 0xba0c, v131
	v_mul_f16_e32 v160, 0x3beb, v131
	;; [unrolled: 1-line block ×4, first 2 shown]
	v_add_f16_e32 v166, v170, v166
	v_fmamk_f16 v170, v115, 0xb93d, v127
	v_mul_f16_e32 v131, 0x3b47, v131
	v_mul_f16_e32 v113, 0x3853, v113
	v_add_f16_e32 v93, v108, v98
	v_fma_f16 v98, v115, 0xb93d, -v127
	v_mul_f16_e32 v143, 0xb93d, v102
	v_mul_f16_e32 v145, 0xbbad, v102
	;; [unrolled: 1-line block ×3, first 2 shown]
	v_sub_f16_e32 v53, v76, v142
	v_add_f16_e32 v35, v41, v35
	v_add_f16_e32 v34, v38, v34
	;; [unrolled: 1-line block ×3, first 2 shown]
	v_mul_f16_e32 v147, 0xb08e, v102
	v_mul_f16_e32 v167, 0xb482, v132
	;; [unrolled: 1-line block ×4, first 2 shown]
	v_add_f16_e32 v166, v170, v166
	v_fmamk_f16 v170, v124, 0x36a6, v131
	v_mul_f16_e32 v175, 0x3b47, v132
	v_fma_f16 v176, v102, 0x3abb, -v113
	v_mul_f16_e32 v121, 0xba0c, v121
	v_mul_f16_e32 v132, 0xbbeb, v132
	v_add_f16_e32 v93, v98, v93
	v_fma_f16 v98, v124, 0x36a6, -v131
	v_mul_f16_e32 v151, 0xbbad, v110
	v_mul_f16_e32 v153, 0x36a6, v110
	;; [unrolled: 1-line block ×3, first 2 shown]
	v_sub_f16_e32 v96, v96, v146
	v_add_f16_e32 v89, v145, v89
	v_sub_f16_e32 v87, v87, v144
	v_add_f16_e32 v82, v143, v82
	v_add_f16_e32 v33, v53, v33
	v_sub_f16_e32 v53, v79, v150
	v_add_f16_e32 v40, v149, v78
	v_add_f16_e32 v35, v74, v35
	;; [unrolled: 1-line block ×3, first 2 shown]
	v_mul_f16_e32 v155, 0x3abb, v110
	v_add_f16_e32 v166, v170, v166
	v_add_f16_e32 v112, v176, v174
	v_fma_f16 v170, v110, 0xb93d, -v121
	v_mul_f16_e32 v126, 0x3b47, v126
	v_fmac_f16_e32 v113, 0x3abb, v102
	v_add_f16_e32 v93, v98, v93
	v_fma_f16 v98, v129, 0xb08e, -v132
	v_sub_f16_e32 v105, v105, v148
	v_add_f16_e32 v99, v147, v99
	v_mul_f16_e32 v159, 0xb08e, v118
	v_mul_f16_e32 v161, 0x3abb, v118
	;; [unrolled: 1-line block ×3, first 2 shown]
	v_add_f16_e32 v86, v96, v86
	v_sub_f16_e32 v96, v109, v154
	v_add_f16_e32 v81, v89, v81
	v_add_f16_e32 v89, v153, v97
	v_add_f16_e32 v80, v87, v80
	v_sub_f16_e32 v87, v94, v152
	v_add_f16_e32 v77, v82, v77
	v_add_f16_e32 v82, v151, v84
	;; [unrolled: 4-line block ×3, first 2 shown]
	v_add_f16_e32 v35, v69, v35
	v_add_f16_e32 v32, v32, v37
	v_mul_f16_e32 v163, 0xbbad, v118
	v_add_f16_e32 v112, v170, v112
	v_fma_f16 v119, v118, 0x36a6, -v126
	v_add_f16_e32 v101, v113, v101
	v_fmac_f16_e32 v121, 0xb93d, v110
	v_add_f16_e32 v93, v98, v93
	v_add_f16_e32 v98, v105, v100
	v_sub_f16_e32 v100, v117, v156
	v_add_f16_e32 v88, v99, v88
	v_add_f16_e32 v99, v155, v111
	v_mul_f16_e32 v168, 0x3abb, v125
	v_mul_f16_e32 v171, 0xb93d, v125
	v_add_f16_e32 v86, v96, v86
	v_sub_f16_e32 v96, v114, v162
	v_add_f16_e32 v81, v89, v81
	v_add_f16_e32 v89, v161, v106
	v_add_f16_e32 v80, v87, v80
	v_sub_f16_e32 v87, v103, v160
	v_add_f16_e32 v54, v82, v77
	v_add_f16_e32 v70, v159, v92
	;; [unrolled: 4-line block ×3, first 2 shown]
	v_mov_b32_e32 v35, 33
	v_add_f16_e32 v26, v26, v32
	v_add_f16_e32 v32, v165, v90
	v_mul_f16_e32 v173, 0x36a6, v125
	v_add_f16_e32 v108, v119, v112
	v_mul_f16_e32 v112, 0xbbeb, v130
	v_add_f16_e32 v101, v121, v101
	v_fmac_f16_e32 v126, 0x36a6, v118
	v_add_f16_e32 v98, v100, v98
	v_sub_f16_e32 v100, v123, v164
	v_add_f16_e32 v88, v99, v88
	v_add_f16_e32 v99, v163, v116
	v_add_f16_e32 v86, v96, v86
	v_sub_f16_e32 v96, v120, v172
	v_add_f16_e32 v81, v89, v81
	v_add_f16_e32 v84, v171, v107
	;; [unrolled: 4-line block ×3, first 2 shown]
	v_add_f16_e32 v27, v39, v27
	v_mul_u32_u24_sdwa v35, v51, v35 dst_sel:DWORD dst_unused:UNUSED_PAD src0_sel:WORD_0 src1_sel:DWORD
	v_add_f16_e32 v26, v36, v26
	v_add_f16_e32 v32, v32, v34
	;; [unrolled: 1-line block ×3, first 2 shown]
	v_fma_f16 v102, v125, 0xb08e, -v112
	v_add_f16_e32 v101, v126, v101
	v_fmac_f16_e32 v112, 0xb08e, v125
	v_add_f16_e32 v98, v100, v98
	v_sub_f16_e32 v100, v128, v175
	v_add_f16_e32 v88, v99, v88
	v_add_f16_e32 v99, v173, v122
	v_fmamk_f16 v174, v129, 0xb08e, v132
	v_add_f16_e32 v86, v96, v86
	v_add_f16_e32 v36, v77, v80
	v_add_lshl_u32 v35, v35, v50, 2
	v_pack_b32_f16 v26, v27, v26
	v_pack_b32_f16 v27, v32, v33
	v_add_f16_e32 v32, v34, v54
	v_add_f16_e32 v33, v84, v81
	;; [unrolled: 1-line block ×7, first 2 shown]
	ds_write2_b32 v35, v26, v27 offset1:3
	v_pack_b32_f16 v26, v32, v36
	v_pack_b32_f16 v27, v33, v86
	;; [unrolled: 1-line block ×5, first 2 shown]
	v_perm_b32 v36, v3, v0, 0x5040100
	v_perm_b32 v37, v11, v9, 0x5040100
	v_perm_b32 v38, v10, v2, 0x5040100
	v_perm_b32 v39, v8, v1, 0x5040100
	ds_write2_b32 v35, v26, v27 offset0:6 offset1:9
	ds_write2_b32 v35, v32, v33 offset0:12 offset1:15
	;; [unrolled: 1-line block ×4, first 2 shown]
	ds_write_b32 v35, v39 offset:120
.LBB0_25:
	s_or_b32 exec_lo, exec_lo, s2
	s_waitcnt lgkmcnt(0)
	s_barrier
	buffer_gl0_inv
	ds_read_b32 v26, v42
	ds_read_b32 v36, v42 offset:1056
	ds_read_b32 v35, v42 offset:2112
	;; [unrolled: 1-line block ×6, first 2 shown]
	s_and_saveexec_b32 s0, s1
	s_cbranch_execz .LBB0_27
; %bb.26:
	ds_read_b32 v0, v42 offset:924
	ds_read_b32 v9, v42 offset:1980
	;; [unrolled: 1-line block ×7, first 2 shown]
	s_waitcnt lgkmcnt(6)
	v_lshrrev_b32_e32 v3, 16, v0
	s_waitcnt lgkmcnt(5)
	v_lshrrev_b32_e32 v11, 16, v9
	;; [unrolled: 2-line block ×7, first 2 shown]
.LBB0_27:
	s_or_b32 exec_lo, exec_lo, s0
	s_waitcnt lgkmcnt(5)
	v_lshrrev_b32_e32 v37, 16, v36
	s_waitcnt lgkmcnt(4)
	v_lshrrev_b32_e32 v38, 16, v35
	;; [unrolled: 2-line block ×3, first 2 shown]
	v_mul_f16_sdwa v40, v12, v36 dst_sel:DWORD dst_unused:UNUSED_PAD src0_sel:WORD_1 src1_sel:DWORD
	s_waitcnt lgkmcnt(2)
	v_lshrrev_b32_e32 v41, 16, v33
	v_mul_f16_sdwa v50, v12, v37 dst_sel:DWORD dst_unused:UNUSED_PAD src0_sel:WORD_1 src1_sel:DWORD
	s_waitcnt lgkmcnt(1)
	v_lshrrev_b32_e32 v51, 16, v27
	s_waitcnt lgkmcnt(0)
	v_lshrrev_b32_e32 v53, 16, v32
	v_fma_f16 v37, v12, v37, -v40
	v_mul_f16_sdwa v40, v13, v38 dst_sel:DWORD dst_unused:UNUSED_PAD src0_sel:WORD_1 src1_sel:DWORD
	v_fmac_f16_e32 v50, v12, v36
	v_mul_f16_sdwa v12, v13, v35 dst_sel:DWORD dst_unused:UNUSED_PAD src0_sel:WORD_1 src1_sel:DWORD
	v_mul_f16_sdwa v36, v14, v39 dst_sel:DWORD dst_unused:UNUSED_PAD src0_sel:WORD_1 src1_sel:DWORD
	;; [unrolled: 1-line block ×4, first 2 shown]
	v_fmac_f16_e32 v40, v13, v35
	v_fma_f16 v12, v13, v38, -v12
	v_fmac_f16_e32 v36, v14, v34
	v_fma_f16 v13, v14, v39, -v54
	v_mul_f16_sdwa v14, v31, v53 dst_sel:DWORD dst_unused:UNUSED_PAD src0_sel:WORD_1 src1_sel:DWORD
	v_mul_f16_sdwa v34, v31, v32 dst_sel:DWORD dst_unused:UNUSED_PAD src0_sel:WORD_1 src1_sel:DWORD
	;; [unrolled: 1-line block ×4, first 2 shown]
	v_fmac_f16_e32 v55, v15, v33
	v_mul_f16_sdwa v33, v15, v33 dst_sel:DWORD dst_unused:UNUSED_PAD src0_sel:WORD_1 src1_sel:DWORD
	v_fmac_f16_e32 v14, v31, v32
	v_fma_f16 v31, v31, v53, -v34
	v_fmac_f16_e32 v35, v30, v27
	v_fma_f16 v27, v30, v51, -v38
	v_fma_f16 v15, v15, v41, -v33
	v_add_f16_e32 v30, v50, v14
	v_add_f16_e32 v32, v37, v31
	v_add_f16_e32 v33, v40, v35
	v_add_f16_e32 v34, v12, v27
	v_sub_f16_e32 v31, v37, v31
	v_sub_f16_e32 v35, v40, v35
	;; [unrolled: 1-line block ×3, first 2 shown]
	v_add_f16_e32 v27, v36, v55
	v_add_f16_e32 v37, v13, v15
	v_sub_f16_e32 v36, v55, v36
	v_sub_f16_e32 v13, v15, v13
	v_add_f16_e32 v15, v33, v30
	v_add_f16_e32 v38, v34, v32
	v_sub_f16_e32 v14, v50, v14
	v_sub_f16_e32 v39, v33, v30
	;; [unrolled: 1-line block ×7, first 2 shown]
	v_add_f16_e32 v41, v36, v35
	v_add_f16_e32 v50, v13, v12
	v_sub_f16_e32 v51, v36, v35
	v_sub_f16_e32 v53, v13, v12
	v_add_f16_e32 v15, v27, v15
	v_add_f16_e32 v27, v37, v38
	v_sub_f16_e32 v35, v35, v14
	v_sub_f16_e32 v12, v12, v31
	;; [unrolled: 1-line block ×4, first 2 shown]
	v_add_f16_e32 v14, v41, v14
	v_add_f16_e32 v31, v50, v31
	;; [unrolled: 1-line block ×3, first 2 shown]
	v_add_f16_sdwa v26, v26, v27 dst_sel:DWORD dst_unused:UNUSED_PAD src0_sel:WORD_1 src1_sel:DWORD
	v_mul_f16_e32 v30, 0x3a52, v30
	v_mul_f16_e32 v32, 0x3a52, v32
	;; [unrolled: 1-line block ×8, first 2 shown]
	v_fmamk_f16 v15, v15, 0xbcab, v37
	v_fmamk_f16 v27, v27, 0xbcab, v26
	;; [unrolled: 1-line block ×4, first 2 shown]
	v_fma_f16 v38, v39, 0x39e0, -v38
	v_fma_f16 v41, v40, 0x39e0, -v41
	;; [unrolled: 1-line block ×4, first 2 shown]
	v_fmamk_f16 v39, v36, 0xb574, v50
	v_fmamk_f16 v40, v13, 0xb574, v51
	v_fma_f16 v35, v35, 0xbb00, -v50
	v_fma_f16 v12, v12, 0xbb00, -v51
	;; [unrolled: 1-line block ×4, first 2 shown]
	v_add_f16_e32 v33, v33, v15
	v_add_f16_e32 v34, v34, v27
	v_fmac_f16_e32 v39, 0xb70e, v14
	v_fmac_f16_e32 v40, 0xb70e, v31
	v_add_f16_e32 v38, v38, v15
	v_add_f16_e32 v41, v41, v27
	v_add_f16_e32 v15, v30, v15
	v_add_f16_e32 v27, v32, v27
	v_fmac_f16_e32 v35, 0xb70e, v14
	v_fmac_f16_e32 v13, 0xb70e, v31
	;; [unrolled: 1-line block ×4, first 2 shown]
	v_add_f16_e32 v14, v40, v33
	v_sub_f16_e32 v30, v34, v39
	v_add_f16_e32 v31, v13, v15
	v_sub_f16_e32 v32, v27, v36
	v_sub_f16_e32 v50, v38, v12
	v_add_f16_e32 v51, v35, v41
	v_add_f16_e32 v12, v12, v38
	v_sub_f16_e32 v35, v41, v35
	v_sub_f16_e32 v13, v15, v13
	v_add_f16_e32 v15, v36, v27
	v_sub_f16_e32 v27, v33, v40
	v_add_f16_e32 v33, v39, v34
	v_pack_b32_f16 v26, v37, v26
	v_pack_b32_f16 v14, v14, v30
	v_pack_b32_f16 v30, v31, v32
	v_pack_b32_f16 v31, v50, v51
	v_pack_b32_f16 v12, v12, v35
	v_pack_b32_f16 v13, v13, v15
	v_pack_b32_f16 v15, v27, v33
	s_barrier
	buffer_gl0_inv
	ds_write2_b32 v56, v26, v14 offset1:33
	ds_write2_b32 v56, v30, v31 offset0:66 offset1:99
	ds_write2_b32 v56, v12, v13 offset0:132 offset1:165
	ds_write_b32 v56, v15 offset:792
	s_and_saveexec_b32 s0, s1
	s_cbranch_execz .LBB0_29
; %bb.28:
	v_mul_f16_sdwa v12, v4, v11 dst_sel:DWORD dst_unused:UNUSED_PAD src0_sel:WORD_1 src1_sel:DWORD
	v_mul_f16_sdwa v14, v6, v8 dst_sel:DWORD dst_unused:UNUSED_PAD src0_sel:WORD_1 src1_sel:DWORD
	;; [unrolled: 1-line block ×5, first 2 shown]
	v_fmac_f16_e32 v12, v4, v9
	v_mul_f16_sdwa v9, v4, v9 dst_sel:DWORD dst_unused:UNUSED_PAD src0_sel:WORD_1 src1_sel:DWORD
	v_mul_f16_sdwa v27, v29, v66 dst_sel:DWORD dst_unused:UNUSED_PAD src0_sel:WORD_1 src1_sel:DWORD
	v_fmac_f16_e32 v14, v6, v1
	v_mul_f16_sdwa v32, v29, v65 dst_sel:DWORD dst_unused:UNUSED_PAD src0_sel:WORD_1 src1_sel:DWORD
	v_mul_f16_sdwa v1, v6, v1 dst_sel:DWORD dst_unused:UNUSED_PAD src0_sel:WORD_1 src1_sel:DWORD
	v_fma_f16 v4, v4, v11, -v9
	v_mul_f16_sdwa v9, v7, v61 dst_sel:DWORD dst_unused:UNUSED_PAD src0_sel:WORD_1 src1_sel:DWORD
	v_fmac_f16_e32 v15, v5, v2
	v_mul_f16_sdwa v35, v28, v63 dst_sel:DWORD dst_unused:UNUSED_PAD src0_sel:WORD_1 src1_sel:DWORD
	v_mul_f16_sdwa v2, v5, v2 dst_sel:DWORD dst_unused:UNUSED_PAD src0_sel:WORD_1 src1_sel:DWORD
	v_fmac_f16_e32 v13, v7, v61
	v_fmac_f16_e32 v26, v28, v63
	;; [unrolled: 1-line block ×3, first 2 shown]
	v_fma_f16 v29, v29, v66, -v32
	v_fma_f16 v1, v6, v8, -v1
	;; [unrolled: 1-line block ×5, first 2 shown]
	v_sub_f16_e32 v30, v13, v14
	v_sub_f16_e32 v31, v15, v26
	;; [unrolled: 1-line block ×3, first 2 shown]
	v_add_f16_e32 v10, v29, v4
	v_add_f16_e32 v9, v1, v6
	v_add_f16_e32 v7, v11, v2
	v_add_f16_e32 v12, v27, v12
	v_add_f16_e32 v15, v26, v15
	v_sub_f16_e32 v34, v30, v31
	v_sub_f16_e32 v32, v33, v30
	v_add_f16_e32 v5, v30, v31
	v_sub_f16_e32 v30, v10, v9
	v_add_f16_e32 v13, v14, v13
	v_add_f16_e32 v28, v7, v10
	;; [unrolled: 1-line block ×3, first 2 shown]
	v_sub_f16_e32 v1, v6, v1
	v_sub_f16_e32 v2, v2, v11
	v_mul_f16_e32 v26, 0x3a52, v30
	v_sub_f16_e32 v30, v12, v13
	v_sub_f16_e32 v4, v4, v29
	v_add_f16_e32 v28, v9, v28
	v_add_f16_e32 v14, v13, v14
	v_sub_f16_e32 v11, v13, v15
	v_sub_f16_e32 v13, v1, v2
	;; [unrolled: 1-line block ×4, first 2 shown]
	v_mul_f16_e32 v6, 0x3a52, v30
	v_sub_f16_e32 v30, v4, v1
	v_add_f16_e32 v1, v1, v2
	v_sub_f16_e32 v2, v2, v4
	v_mul_f16_e32 v34, 0x3846, v34
	v_add_f16_e32 v3, v3, v28
	v_add_f16_e32 v0, v0, v14
	v_mul_f16_e32 v13, 0x3846, v13
	v_mul_f16_e32 v36, 0xbb00, v31
	v_sub_f16_e32 v7, v7, v10
	v_mul_f16_e32 v27, 0x2b26, v9
	v_fmamk_f16 v29, v11, 0x2b26, v6
	v_mul_f16_e32 v11, 0x2b26, v11
	v_sub_f16_e32 v10, v15, v12
	v_mul_f16_e32 v15, 0xbb00, v2
	v_fmamk_f16 v8, v32, 0xb574, v34
	v_add_f16_e32 v5, v5, v33
	v_fmamk_f16 v9, v9, 0x2b26, v26
	v_fmamk_f16 v28, v28, 0xbcab, v3
	;; [unrolled: 1-line block ×4, first 2 shown]
	v_add_f16_e32 v1, v1, v4
	v_fma_f16 v4, v32, 0x3574, -v36
	v_fma_f16 v12, v7, 0xb9e0, -v26
	v_fma_f16 v6, v10, 0xb9e0, -v6
	v_fma_f16 v15, v30, 0x3574, -v15
	v_fma_f16 v7, v7, 0x39e0, -v27
	v_fma_f16 v26, v31, 0xbb00, -v34
	v_fma_f16 v2, v2, 0xbb00, -v13
	v_fma_f16 v10, v10, 0x39e0, -v11
	v_fmac_f16_e32 v8, 0xb70e, v5
	v_add_f16_e32 v9, v9, v28
	v_add_f16_e32 v29, v29, v14
	v_fmac_f16_e32 v33, 0xb70e, v1
	v_fmac_f16_e32 v4, 0xb70e, v5
	v_add_f16_e32 v12, v12, v28
	v_mov_b32_e32 v27, 2
	v_add_f16_e32 v6, v6, v14
	v_fmac_f16_e32 v15, 0xb70e, v1
	v_add_f16_e32 v7, v7, v28
	v_fmac_f16_e32 v26, 0xb70e, v5
	v_fmac_f16_e32 v2, 0xb70e, v1
	v_add_f16_e32 v1, v10, v14
	v_add_f16_e32 v35, v8, v9
	;; [unrolled: 1-line block ×3, first 2 shown]
	v_sub_f16_e32 v4, v12, v4
	v_sub_f16_e32 v8, v9, v8
	v_add_f16_e32 v9, v33, v29
	v_lshlrev_b32_sdwa v12, v27, v52 dst_sel:DWORD dst_unused:UNUSED_PAD src0_sel:DWORD src1_sel:WORD_0
	v_sub_f16_e32 v11, v6, v15
	v_sub_f16_e32 v13, v7, v26
	v_add_f16_e32 v14, v2, v1
	v_add_f16_e32 v7, v26, v7
	;; [unrolled: 1-line block ×3, first 2 shown]
	v_sub_f16_e32 v1, v1, v2
	v_sub_f16_e32 v5, v29, v33
	v_pack_b32_f16 v0, v0, v3
	v_pack_b32_f16 v2, v9, v8
	v_add_nc_u32_e32 v3, 0x1800, v12
	v_pack_b32_f16 v4, v6, v4
	v_pack_b32_f16 v1, v1, v7
	;; [unrolled: 1-line block ×5, first 2 shown]
	ds_write2_b32 v3, v0, v2 offset0:81 offset1:114
	ds_write2_b32 v3, v4, v1 offset0:147 offset1:180
	ds_write2_b32 v3, v6, v7 offset0:213 offset1:246
	ds_write_b32 v12, v5 offset:7260
.LBB0_29:
	s_or_b32 exec_lo, exec_lo, s0
	v_add_nc_u32_e32 v8, 0x700, v42
	v_add_nc_u32_e32 v9, 0xe40, v42
	;; [unrolled: 1-line block ×3, first 2 shown]
	s_waitcnt lgkmcnt(0)
	s_barrier
	buffer_gl0_inv
	ds_read2_b32 v[0:1], v42 offset1:231
	ds_read2_b32 v[2:3], v8 offset0:14 offset1:245
	ds_read2_b32 v[4:5], v9 offset0:12 offset1:243
	;; [unrolled: 1-line block ×3, first 2 shown]
	s_waitcnt lgkmcnt(0)
	s_barrier
	buffer_gl0_inv
	s_mov_b32 s4, 0x4046ed29
	s_mov_b32 s5, 0x3f41bb4a
	v_lshrrev_b32_e32 v11, 16, v0
	v_lshrrev_b32_e32 v13, 16, v2
	;; [unrolled: 1-line block ×4, first 2 shown]
	v_mul_f16_sdwa v29, v16, v2 dst_sel:DWORD dst_unused:UNUSED_PAD src0_sel:WORD_1 src1_sel:DWORD
	v_mul_f16_sdwa v30, v17, v4 dst_sel:DWORD dst_unused:UNUSED_PAD src0_sel:WORD_1 src1_sel:DWORD
	v_lshrrev_b32_e32 v26, 16, v3
	v_lshrrev_b32_e32 v27, 16, v5
	;; [unrolled: 1-line block ×3, first 2 shown]
	v_mul_f16_sdwa v31, v18, v6 dst_sel:DWORD dst_unused:UNUSED_PAD src0_sel:WORD_1 src1_sel:DWORD
	v_mul_f16_sdwa v32, v16, v3 dst_sel:DWORD dst_unused:UNUSED_PAD src0_sel:WORD_1 src1_sel:DWORD
	;; [unrolled: 1-line block ×3, first 2 shown]
	v_fma_f16 v13, v16, v13, -v29
	v_mul_f16_sdwa v29, v17, v14 dst_sel:DWORD dst_unused:UNUSED_PAD src0_sel:WORD_1 src1_sel:DWORD
	v_fma_f16 v14, v17, v14, -v30
	v_mul_f16_sdwa v30, v18, v15 dst_sel:DWORD dst_unused:UNUSED_PAD src0_sel:WORD_1 src1_sel:DWORD
	v_mul_f16_sdwa v33, v17, v5 dst_sel:DWORD dst_unused:UNUSED_PAD src0_sel:WORD_1 src1_sel:DWORD
	v_mul_f16_sdwa v34, v18, v7 dst_sel:DWORD dst_unused:UNUSED_PAD src0_sel:WORD_1 src1_sel:DWORD
	v_fma_f16 v15, v18, v15, -v31
	v_mul_f16_sdwa v31, v16, v26 dst_sel:DWORD dst_unused:UNUSED_PAD src0_sel:WORD_1 src1_sel:DWORD
	v_fma_f16 v26, v16, v26, -v32
	v_mul_f16_sdwa v32, v17, v27 dst_sel:DWORD dst_unused:UNUSED_PAD src0_sel:WORD_1 src1_sel:DWORD
	v_fmac_f16_e32 v35, v16, v2
	v_fmac_f16_e32 v29, v17, v4
	v_fmac_f16_e32 v30, v18, v6
	v_mul_f16_sdwa v4, v18, v28 dst_sel:DWORD dst_unused:UNUSED_PAD src0_sel:WORD_1 src1_sel:DWORD
	v_lshrrev_b32_e32 v12, 16, v1
	v_fma_f16 v2, v17, v27, -v33
	v_fma_f16 v6, v18, v28, -v34
	v_sub_f16_e32 v27, v0, v29
	v_sub_f16_e32 v28, v35, v30
	v_fmac_f16_e32 v31, v16, v3
	v_sub_f16_e32 v3, v11, v14
	v_sub_f16_e32 v14, v13, v15
	v_fmac_f16_e32 v32, v17, v5
	v_fmac_f16_e32 v4, v18, v7
	v_fma_f16 v0, v0, 2.0, -v27
	v_fma_f16 v15, v35, 2.0, -v28
	;; [unrolled: 1-line block ×3, first 2 shown]
	v_sub_f16_e32 v2, v12, v2
	v_sub_f16_e32 v13, v1, v32
	;; [unrolled: 1-line block ×4, first 2 shown]
	v_fma_f16 v5, v11, 2.0, -v3
	v_sub_f16_e32 v11, v0, v15
	v_fma_f16 v1, v1, 2.0, -v13
	v_fma_f16 v12, v12, 2.0, -v2
	;; [unrolled: 1-line block ×4, first 2 shown]
	v_sub_f16_e32 v7, v5, v7
	v_add_f16_e32 v14, v27, v14
	v_sub_f16_e32 v17, v3, v28
	v_sub_f16_e32 v15, v1, v15
	;; [unrolled: 1-line block ×3, first 2 shown]
	v_add_f16_e32 v6, v13, v6
	v_sub_f16_e32 v4, v2, v4
	v_fma_f16 v0, v0, 2.0, -v11
	v_fma_f16 v5, v5, 2.0, -v7
	;; [unrolled: 1-line block ×8, first 2 shown]
	v_pack_b32_f16 v0, v0, v5
	v_pack_b32_f16 v3, v18, v3
	;; [unrolled: 1-line block ×8, first 2 shown]
	ds_write2_b32 v42, v0, v3 offset1:231
	ds_write2_b32 v8, v5, v7 offset0:14 offset1:245
	ds_write2_b32 v9, v1, v2 offset0:12 offset1:243
	;; [unrolled: 1-line block ×3, first 2 shown]
	s_waitcnt lgkmcnt(0)
	s_barrier
	buffer_gl0_inv
	ds_read2_b32 v[0:1], v9 offset0:12 offset1:243
	ds_read2_b32 v[2:3], v42 offset1:231
	ds_read2_b32 v[4:5], v8 offset0:14 offset1:245
	ds_read2_b32 v[6:7], v10 offset0:10 offset1:241
	s_waitcnt lgkmcnt(3)
	v_lshrrev_b32_e32 v9, 16, v0
	v_lshrrev_b32_e32 v12, 16, v1
	v_mul_f16_sdwa v18, v57, v0 dst_sel:DWORD dst_unused:UNUSED_PAD src0_sel:WORD_1 src1_sel:DWORD
	s_waitcnt lgkmcnt(0)
	v_lshrrev_b32_e32 v15, 16, v6
	v_lshrrev_b32_e32 v17, 16, v7
	v_mul_f16_sdwa v14, v57, v9 dst_sel:DWORD dst_unused:UNUSED_PAD src0_sel:WORD_1 src1_sel:DWORD
	v_mul_f16_sdwa v26, v60, v1 dst_sel:DWORD dst_unused:UNUSED_PAD src0_sel:WORD_1 src1_sel:DWORD
	v_fma_f16 v9, v57, v9, -v18
	v_mul_f16_sdwa v27, v59, v15 dst_sel:DWORD dst_unused:UNUSED_PAD src0_sel:WORD_1 src1_sel:DWORD
	v_mul_f16_sdwa v18, v59, v6 dst_sel:DWORD dst_unused:UNUSED_PAD src0_sel:WORD_1 src1_sel:DWORD
	v_fmac_f16_e32 v14, v57, v0
	v_mul_f16_sdwa v0, v60, v12 dst_sel:DWORD dst_unused:UNUSED_PAD src0_sel:WORD_1 src1_sel:DWORD
	v_lshrrev_b32_e32 v10, 16, v2
	v_fmac_f16_e32 v27, v59, v6
	v_mul_f16_sdwa v6, v58, v17 dst_sel:DWORD dst_unused:UNUSED_PAD src0_sel:WORD_1 src1_sel:DWORD
	v_lshrrev_b32_e32 v11, 16, v3
	v_fmac_f16_e32 v0, v60, v1
	v_fma_f16 v1, v60, v12, -v26
	v_fma_f16 v12, v59, v15, -v18
	v_mul_f16_sdwa v15, v58, v7 dst_sel:DWORD dst_unused:UNUSED_PAD src0_sel:WORD_1 src1_sel:DWORD
	v_lshrrev_b32_e32 v13, 16, v4
	v_lshrrev_b32_e32 v16, 16, v5
	v_fmac_f16_e32 v6, v58, v7
	v_sub_f16_e32 v14, v2, v14
	v_fma_f16 v7, v58, v17, -v15
	v_sub_f16_e32 v9, v10, v9
	v_sub_f16_e32 v0, v3, v0
	;; [unrolled: 1-line block ×7, first 2 shown]
	v_fma_f16 v2, v2, 2.0, -v14
	v_fma_f16 v10, v10, 2.0, -v9
	v_fma_f16 v3, v3, 2.0, -v0
	v_fma_f16 v11, v11, 2.0, -v1
	v_fma_f16 v4, v4, 2.0, -v15
	v_fma_f16 v13, v13, 2.0, -v12
	v_fma_f16 v5, v5, 2.0, -v6
	v_fma_f16 v16, v16, 2.0, -v7
	v_pack_b32_f16 v9, v14, v9
	v_pack_b32_f16 v2, v2, v10
	;; [unrolled: 1-line block ×6, first 2 shown]
	v_add_nc_u32_e32 v10, 0x1200, v42
	v_pack_b32_f16 v5, v5, v16
	v_pack_b32_f16 v6, v6, v7
	ds_write_b32 v42, v9 offset:3696
	ds_write2_b32 v42, v2, v3 offset1:231
	ds_write2_b32 v10, v0, v4 offset0:3 offset1:234
	ds_write2_b32 v8, v1, v5 offset0:14 offset1:245
	ds_write_b32 v42, v6 offset:6468
	s_waitcnt lgkmcnt(0)
	s_barrier
	buffer_gl0_inv
	ds_read2_b32 v[3:4], v42 offset1:231
	v_add_nc_u32_e32 v0, 0x980, v42
	v_mad_u64_u32 v[9:10], null, s10, v23, 0
	v_mad_u64_u32 v[13:14], null, s8, v47, 0
	ds_read2_b32 v[1:2], v0 offset0:8 offset1:239
	s_waitcnt lgkmcnt(1)
	v_lshrrev_b32_e32 v0, 16, v3
	v_mul_f16_sdwa v5, v49, v3 dst_sel:DWORD dst_unused:UNUSED_PAD src0_sel:WORD_1 src1_sel:DWORD
	v_mul_f16_sdwa v6, v49, v0 dst_sel:DWORD dst_unused:UNUSED_PAD src0_sel:WORD_1 src1_sel:DWORD
	v_fma_f16 v0, v49, v0, -v5
	v_fmac_f16_e32 v6, v49, v3
	v_cvt_f32_f16_e32 v0, v0
	v_cvt_f32_f16_e32 v3, v6
	v_cvt_f64_f32_e32 v[5:6], v0
	s_waitcnt lgkmcnt(0)
	v_lshrrev_b32_e32 v0, 16, v1
	v_cvt_f64_f32_e32 v[7:8], v3
	v_mul_f16_sdwa v3, v48, v0 dst_sel:DWORD dst_unused:UNUSED_PAD src0_sel:WORD_1 src1_sel:DWORD
	v_fmac_f16_e32 v3, v48, v1
	v_mul_f16_sdwa v1, v48, v1 dst_sel:DWORD dst_unused:UNUSED_PAD src0_sel:WORD_1 src1_sel:DWORD
	v_cvt_f32_f16_e32 v3, v3
	v_fma_f16 v1, v48, v0, -v1
	v_mov_b32_e32 v0, v10
	v_cvt_f64_f32_e32 v[11:12], v3
	v_mul_f64 v[5:6], v[5:6], s[4:5]
	v_add_nc_u32_e32 v3, 0x1300, v42
	v_cvt_f32_f16_e32 v10, v1
	v_mad_u64_u32 v[15:16], null, s11, v23, v[0:1]
	v_mul_f64 v[7:8], v[7:8], s[4:5]
	ds_read2_b32 v[0:1], v3 offset0:16 offset1:247
	v_mov_b32_e32 v3, v14
	v_cvt_f64_f32_e32 v[16:17], v10
	v_mov_b32_e32 v10, v15
	v_mad_u64_u32 v[26:27], null, s9, v47, v[3:4]
	v_mul_f64 v[11:12], v[11:12], s[4:5]
	v_and_or_b32 v3, 0x1ff, v6, v5
	v_bfe_u32 v14, v6, 20, 11
	s_waitcnt lgkmcnt(0)
	v_lshrrev_b32_e32 v23, 16, v0
	v_and_or_b32 v5, 0x1ff, v8, v7
	v_lshrrev_b32_e32 v15, 8, v8
	v_bfe_u32 v18, v8, 20, 11
	v_lshrrev_b32_e32 v7, 8, v6
	v_sub_nc_u32_e32 v28, 0x3f1, v14
	v_cmp_ne_u32_e64 s0, 0, v5
	v_add_nc_u32_e32 v14, 0xfffffc10, v14
	v_sub_nc_u32_e32 v27, 0x3f1, v18
	v_add_nc_u32_e32 v18, 0xfffffc10, v18
	v_lshrrev_b32_e32 v8, 16, v8
	v_cndmask_b32_e64 v5, 0, 1, s0
	v_cmp_ne_u32_e64 s0, 0, v3
	v_lshrrev_b32_e32 v6, 16, v6
	v_and_or_b32 v5, 0xffe, v15, v5
	v_cndmask_b32_e64 v3, 0, 1, s0
	v_mul_f64 v[15:16], v[16:17], s[4:5]
	v_and_or_b32 v11, 0x1ff, v12, v11
	v_lshrrev_b32_e32 v31, 8, v12
	v_or_b32_e32 v17, 0x1000, v5
	v_and_or_b32 v3, 0xffe, v7, v3
	v_med3_i32 v7, v27, 0, 13
	v_med3_i32 v27, v28, 0, 13
	v_cmp_ne_u32_e64 s0, 0, v11
	v_lshl_or_b32 v33, v18, 12, v5
	v_or_b32_e32 v28, 0x1000, v3
	v_lshrrev_b32_e32 v29, v7, v17
	v_bfe_u32 v32, v12, 20, 11
	v_cndmask_b32_e64 v11, 0, 1, s0
	v_lshrrev_b32_e32 v30, v27, v28
	v_lshlrev_b32_e32 v7, v7, v29
	v_and_or_b32 v11, 0xffe, v31, v11
	v_lshlrev_b32_e32 v27, v27, v30
	v_cmp_ne_u32_e64 s0, v7, v17
	v_cndmask_b32_e64 v7, 0, 1, s0
	v_cmp_ne_u32_e64 s0, v27, v28
	v_lshl_or_b32 v28, v14, 12, v3
	v_sub_nc_u32_e32 v27, 0x3f1, v32
	v_or_b32_e32 v7, v29, v7
	v_cndmask_b32_e64 v17, 0, 1, s0
	v_cmp_ne_u32_e64 s0, 0, v3
	v_med3_i32 v27, v27, 0, 13
	v_or_b32_e32 v17, v30, v17
	v_cndmask_b32_e64 v3, 0, 1, s0
	v_cmp_gt_i32_e64 s0, 1, v18
	v_lshl_or_b32 v3, v3, 9, 0x7c00
	v_cndmask_b32_e64 v7, v33, v7, s0
	v_cmp_gt_i32_e64 s0, 1, v14
	v_cndmask_b32_e64 v17, v28, v17, s0
	v_cmp_ne_u32_e64 s0, 0, v5
	v_and_b32_e32 v28, 7, v7
	v_lshrrev_b32_e32 v7, 2, v7
	v_and_b32_e32 v29, 7, v17
	v_cndmask_b32_e64 v5, 0, 1, s0
	v_cmp_lt_i32_e64 s0, 5, v28
	v_cmp_eq_u32_e64 s1, 3, v28
	v_lshrrev_b32_e32 v17, 2, v17
	v_cmp_lt_i32_e64 s2, 5, v29
	v_cmp_eq_u32_e64 s3, 3, v29
	v_lshl_or_b32 v5, v5, 9, 0x7c00
	s_or_b32 s0, s1, s0
	v_add_co_ci_u32_e64 v7, s0, 0, v7, s0
	s_or_b32 s0, s3, s2
	v_add_co_ci_u32_e64 v17, s0, 0, v17, s0
	v_cmp_gt_i32_e64 s0, 31, v18
	v_cndmask_b32_e64 v7, 0x7c00, v7, s0
	v_cmp_gt_i32_e64 s0, 31, v14
	v_cndmask_b32_e64 v17, 0x7c00, v17, s0
	v_cmp_eq_u32_e64 s0, 0x40f, v18
	v_cndmask_b32_e64 v5, v7, v5, s0
	v_or_b32_e32 v7, 0x1000, v11
	v_cmp_eq_u32_e64 s0, 0x40f, v14
	v_mov_b32_e32 v14, v26
	v_and_or_b32 v5, 0x8000, v8, v5
	v_mul_f16_sdwa v8, v46, v23 dst_sel:DWORD dst_unused:UNUSED_PAD src0_sel:WORD_1 src1_sel:DWORD
	v_cndmask_b32_e64 v3, v17, v3, s0
	v_lshrrev_b32_e32 v17, v27, v7
	v_and_b32_e32 v18, 0xffff, v5
	v_fmac_f16_e32 v8, v46, v0
	v_and_or_b32 v3, 0x8000, v6, v3
	v_lshlrev_b32_e32 v26, v27, v17
	v_lshlrev_b64 v[5:6], 2, v[9:10]
	v_and_or_b32 v9, 0x1ff, v16, v15
	v_add_nc_u32_e32 v15, 0xfffffc10, v32
	v_lshl_or_b32 v3, v3, 16, v18
	v_cmp_ne_u32_e64 s0, v26, v7
	v_cvt_f32_f16_e32 v7, v8
	v_lshrrev_b32_e32 v18, 8, v16
	v_bfe_u32 v26, v16, 20, 11
	v_mul_f16_sdwa v0, v46, v0 dst_sel:DWORD dst_unused:UNUSED_PAD src0_sel:WORD_1 src1_sel:DWORD
	v_cndmask_b32_e64 v10, 0, 1, s0
	v_cmp_ne_u32_e64 s0, 0, v9
	v_cvt_f64_f32_e32 v[7:8], v7
	v_fma_f16 v0, v46, v23, -v0
	v_or_b32_e32 v10, v17, v10
	v_cndmask_b32_e64 v9, 0, 1, s0
	v_add_co_u32 v27, s0, s6, v5
	v_add_co_ci_u32_e64 v28, s0, s7, v6, s0
	v_and_or_b32 v18, 0xffe, v18, v9
	v_sub_nc_u32_e32 v9, 0x3f1, v26
	v_lshl_or_b32 v17, v15, 12, v11
	v_lshlrev_b64 v[5:6], 2, v[13:14]
	v_cmp_gt_i32_e64 s0, 1, v15
	v_or_b32_e32 v13, 0x1000, v18
	v_med3_i32 v9, v9, 0, 13
	v_cvt_f32_f16_e32 v0, v0
	v_cndmask_b32_e64 v10, v17, v10, s0
	v_add_co_u32 v5, s0, v27, v5
	v_add_co_ci_u32_e64 v6, s0, v28, v6, s0
	v_lshrrev_b32_e32 v14, v9, v13
	v_and_b32_e32 v17, 7, v10
	v_mul_f64 v[7:8], v[7:8], s[4:5]
	global_store_dword v[5:6], v3, off
	v_lshlrev_b32_e32 v3, v9, v14
	v_cmp_lt_i32_e64 s0, 5, v17
	v_cmp_eq_u32_e64 s1, 3, v17
	v_lshrrev_b32_e32 v9, 2, v10
	v_cmp_ne_u32_e64 s2, v3, v13
	v_add_nc_u32_e32 v13, 0xfffffc10, v26
	s_or_b32 s0, s1, s0
	v_add_co_ci_u32_e64 v17, s0, 0, v9, s0
	v_cndmask_b32_e64 v3, 0, 1, s2
	v_cmp_ne_u32_e64 s0, 0, v11
	v_cvt_f64_f32_e32 v[9:10], v0
	s_mul_i32 s2, s8, 0x268
	v_or_b32_e32 v3, v14, v3
	v_lshl_or_b32 v14, v13, 12, v18
	v_cndmask_b32_e64 v11, 0, 1, s0
	v_cmp_gt_i32_e64 s0, 1, v13
	v_bfe_u32 v23, v8, 20, 11
	v_lshl_or_b32 v11, v11, 9, 0x7c00
	v_cndmask_b32_e64 v0, v14, v3, s0
	v_and_or_b32 v3, 0x1ff, v8, v7
	v_cmp_gt_i32_e64 s0, 31, v15
	v_and_b32_e32 v14, 7, v0
	v_lshrrev_b32_e32 v0, 2, v0
	v_cndmask_b32_e64 v7, 0x7c00, v17, s0
	v_cmp_ne_u32_e64 s0, 0, v3
	v_lshrrev_b32_e32 v17, 8, v8
	v_cmp_eq_u32_e64 s1, 3, v14
	v_mul_f64 v[9:10], v[9:10], s[4:5]
	v_lshrrev_b32_e32 v8, 16, v8
	v_cndmask_b32_e64 v3, 0, 1, s0
	v_cmp_eq_u32_e64 s0, 0x40f, v15
	v_and_or_b32 v15, 0xffe, v17, v3
	v_cndmask_b32_e64 v7, v7, v11, s0
	v_cmp_lt_i32_e64 s0, 5, v14
	v_sub_nc_u32_e32 v3, 0x3f1, v23
	v_lshrrev_b32_e32 v11, 16, v12
	v_or_b32_e32 v12, 0x1000, v15
	v_lshrrev_b32_e32 v14, 16, v4
	s_or_b32 s0, s1, s0
	v_med3_i32 v3, v3, 0, 13
	v_add_co_ci_u32_e64 v0, s0, 0, v0, s0
	v_cmp_ne_u32_e64 s0, 0, v18
	v_mul_f16_sdwa v26, v45, v14 dst_sel:DWORD dst_unused:UNUSED_PAD src0_sel:WORD_1 src1_sel:DWORD
	v_lshrrev_b32_e32 v18, v3, v12
	v_and_or_b32 v7, 0x8000, v11, v7
	v_and_or_b32 v9, 0x1ff, v10, v9
	v_cndmask_b32_e64 v17, 0, 1, s0
	v_cmp_gt_i32_e64 s0, 31, v13
	v_lshlrev_b32_e32 v3, v3, v18
	v_fmac_f16_e32 v26, v45, v4
	v_lshrrev_b32_e32 v11, 16, v16
	v_lshl_or_b32 v17, v17, 9, 0x7c00
	v_cndmask_b32_e64 v0, 0x7c00, v0, s0
	v_cmp_eq_u32_e64 s0, 0x40f, v13
	v_cvt_f32_f16_e32 v13, v26
	v_add_nc_u32_e32 v16, 0xfffffc10, v23
	s_mul_hi_u32 s1, s8, 0x268
	v_and_b32_e32 v7, 0xffff, v7
	v_cndmask_b32_e64 v0, v0, v17, s0
	v_cmp_ne_u32_e64 s0, v3, v12
	v_lshrrev_b32_e32 v17, 8, v10
	v_and_or_b32 v0, 0x8000, v11, v0
	v_cndmask_b32_e64 v3, 0, 1, s0
	v_cmp_ne_u32_e64 s0, 0, v9
	v_cvt_f64_f32_e32 v[11:12], v13
	v_lshl_or_b32 v13, v16, 12, v15
	v_or_b32_e32 v3, v18, v3
	v_cndmask_b32_e64 v9, 0, 1, s0
	v_bfe_u32 v18, v10, 20, 11
	v_cmp_gt_i32_e64 s0, 1, v16
	v_and_or_b32 v9, 0xffe, v17, v9
	v_cndmask_b32_e64 v13, v13, v3, s0
	v_sub_nc_u32_e32 v3, 0x3f1, v18
	s_mul_i32 s0, s9, 0x268
	v_or_b32_e32 v23, 0x1000, v9
	s_add_i32 s3, s1, s0
	v_and_b32_e32 v17, 7, v13
	v_med3_i32 v26, v3, 0, 13
	s_lshl_b64 s[12:13], s[2:3], 2
	v_cmp_lt_i32_e64 s0, 5, v17
	v_lshrrev_b32_e32 v27, v26, v23
	v_cmp_eq_u32_e64 s1, 3, v17
	v_mul_f16_sdwa v17, v45, v4 dst_sel:DWORD dst_unused:UNUSED_PAD src0_sel:WORD_1 src1_sel:DWORD
	v_mul_f64 v[3:4], v[11:12], s[4:5]
	v_lshrrev_b32_e32 v11, 2, v13
	v_lshlrev_b32_e32 v13, v26, v27
	s_or_b32 s0, s1, s0
	v_fma_f16 v12, v45, v14, -v17
	v_add_nc_u32_e32 v17, 0xfffffc10, v18
	v_add_co_ci_u32_e64 v14, s0, 0, v11, s0
	v_cmp_ne_u32_e64 s0, v13, v23
	v_cvt_f32_f16_e32 v11, v12
	v_lshl_or_b32 v18, v17, 12, v9
	v_cndmask_b32_e64 v13, 0, 1, s0
	v_cmp_ne_u32_e64 s0, 0, v15
	v_cvt_f64_f32_e32 v[11:12], v11
	v_or_b32_e32 v13, v27, v13
	v_cndmask_b32_e64 v15, 0, 1, s0
	v_cmp_gt_i32_e64 s0, 31, v16
	v_and_or_b32 v3, 0x1ff, v4, v3
	v_lshl_or_b32 v15, v15, 9, 0x7c00
	v_cndmask_b32_e64 v14, 0x7c00, v14, s0
	v_cmp_gt_i32_e64 s0, 1, v17
	v_cndmask_b32_e64 v13, v18, v13, s0
	v_cmp_eq_u32_e64 s0, 0x40f, v16
	v_lshl_or_b32 v18, v0, 16, v7
	v_lshrrev_b32_e32 v16, 16, v2
	v_and_b32_e32 v7, 7, v13
	v_cndmask_b32_e64 v0, v14, v15, s0
	v_cmp_ne_u32_e64 s0, 0, v3
	v_lshrrev_b32_e32 v14, 8, v4
	v_bfe_u32 v15, v4, 20, 11
	v_cmp_eq_u32_e64 s1, 3, v7
	v_mul_f64 v[11:12], v[11:12], s[4:5]
	v_cndmask_b32_e64 v3, 0, 1, s0
	v_cmp_lt_i32_e64 s0, 5, v7
	v_lshrrev_b32_e32 v7, 2, v13
	v_sub_nc_u32_e32 v13, 0x3f1, v15
	v_and_or_b32 v0, 0x8000, v8, v0
	v_and_or_b32 v3, 0xffe, v14, v3
	s_or_b32 s0, s1, s0
	v_lshrrev_b32_e32 v4, 16, v4
	v_add_co_ci_u32_e64 v7, s0, 0, v7, s0
	v_cmp_ne_u32_e64 s0, 0, v9
	v_or_b32_e32 v14, 0x1000, v3
	v_med3_i32 v13, v13, 0, 13
	v_and_b32_e32 v0, 0xffff, v0
	v_cndmask_b32_e64 v9, 0, 1, s0
	v_cmp_gt_i32_e64 s0, 31, v17
	v_lshrrev_b32_e32 v23, v13, v14
	v_lshl_or_b32 v9, v9, 9, 0x7c00
	v_cndmask_b32_e64 v7, 0x7c00, v7, s0
	v_cmp_eq_u32_e64 s0, 0x40f, v17
	v_lshlrev_b32_e32 v13, v13, v23
	v_cndmask_b32_e64 v7, v7, v9, s0
	v_lshrrev_b32_e32 v9, 16, v10
	v_mul_f16_sdwa v10, v44, v16 dst_sel:DWORD dst_unused:UNUSED_PAD src0_sel:WORD_1 src1_sel:DWORD
	v_cmp_ne_u32_e64 s0, v13, v14
	v_add_nc_u32_e32 v13, 0xfffffc10, v15
	v_lshrrev_b32_e32 v14, 8, v12
	v_and_or_b32 v9, 0x8000, v9, v7
	v_and_or_b32 v7, 0x1ff, v12, v11
	v_fmac_f16_e32 v10, v44, v2
	v_cndmask_b32_e64 v11, 0, 1, s0
	v_bfe_u32 v15, v12, 20, 11
	v_lshl_or_b32 v17, v13, 12, v3
	v_cmp_ne_u32_e64 s0, 0, v7
	v_cvt_f32_f16_e32 v8, v10
	v_or_b32_e32 v11, v23, v11
	v_lshl_or_b32 v26, v9, 16, v0
	v_mul_f16_sdwa v2, v44, v2 dst_sel:DWORD dst_unused:UNUSED_PAD src0_sel:WORD_1 src1_sel:DWORD
	v_cndmask_b32_e64 v10, 0, 1, s0
	v_cvt_f64_f32_e32 v[7:8], v8
	v_cmp_gt_i32_e64 s0, 1, v13
	v_lshrrev_b32_e32 v12, 16, v12
	v_fma_f16 v2, v44, v16, -v2
	v_and_or_b32 v14, 0xffe, v14, v10
	v_sub_nc_u32_e32 v10, 0x3f1, v15
	v_cndmask_b32_e64 v11, v17, v11, s0
	v_add_co_u32 v5, s0, v5, s12
	v_or_b32_e32 v17, 0x1000, v14
	v_med3_i32 v23, v10, 0, 13
	v_add_co_ci_u32_e64 v6, s0, s13, v6, s0
	v_and_b32_e32 v0, 7, v11
	v_add_co_u32 v9, s0, v5, s12
	v_lshrrev_b32_e32 v27, v23, v17
	v_add_co_ci_u32_e64 v10, s0, s13, v6, s0
	v_cmp_lt_i32_e64 s0, 5, v0
	v_cmp_eq_u32_e64 s1, 3, v0
	v_lshlrev_b32_e32 v23, v23, v27
	v_mul_f64 v[7:8], v[7:8], s[4:5]
	v_lshrrev_b32_e32 v0, 2, v11
	v_add_nc_u32_e32 v15, 0xfffffc10, v15
	s_or_b32 s0, s1, s0
	v_cmp_ne_u32_e64 s2, v23, v17
	v_cvt_f32_f16_e32 v2, v2
	v_add_co_ci_u32_e64 v0, s0, 0, v0, s0
	v_cmp_ne_u32_e64 s0, 0, v3
	v_cndmask_b32_e64 v11, 0, 1, s2
	v_lshl_or_b32 v17, v15, 12, v14
	v_lshrrev_b32_e32 v23, 16, v1
	v_cndmask_b32_e64 v3, 0, 1, s0
	v_or_b32_e32 v11, v27, v11
	v_cmp_gt_i32_e64 s0, 1, v15
	v_lshl_or_b32 v3, v3, 9, 0x7c00
	v_cndmask_b32_e64 v11, v17, v11, s0
	v_cmp_gt_i32_e64 s0, 31, v13
	v_and_or_b32 v7, 0x1ff, v8, v7
	v_bfe_u32 v17, v8, 20, 11
	v_and_b32_e32 v16, 7, v11
	v_cndmask_b32_e64 v0, 0x7c00, v0, s0
	v_cmp_eq_u32_e64 s0, 0x40f, v13
	v_cmp_ne_u32_e64 s1, 0, v7
	v_lshrrev_b32_e32 v13, 8, v8
	v_lshrrev_b32_e32 v11, 2, v11
	;; [unrolled: 1-line block ×3, first 2 shown]
	v_cndmask_b32_e64 v0, v0, v3, s0
	v_cvt_f64_f32_e32 v[2:3], v2
	v_cndmask_b32_e64 v7, 0, 1, s1
	v_cmp_lt_i32_e64 s0, 5, v16
	v_cmp_eq_u32_e64 s1, 3, v16
	v_mul_f16_sdwa v16, v43, v23 dst_sel:DWORD dst_unused:UNUSED_PAD src0_sel:WORD_1 src1_sel:DWORD
	v_and_or_b32 v0, 0x8000, v4, v0
	v_and_or_b32 v7, 0xffe, v13, v7
	v_sub_nc_u32_e32 v13, 0x3f1, v17
	s_or_b32 s0, s1, s0
	v_fmac_f16_e32 v16, v43, v1
	v_add_co_ci_u32_e64 v11, s0, 0, v11, s0
	v_or_b32_e32 v27, 0x1000, v7
	v_med3_i32 v13, v13, 0, 13
	v_cmp_ne_u32_e64 s0, 0, v14
	v_cvt_f32_f16_e32 v16, v16
	v_mul_f16_sdwa v1, v43, v1 dst_sel:DWORD dst_unused:UNUSED_PAD src0_sel:WORD_1 src1_sel:DWORD
	s_mul_i32 s1, s9, 0xfffffc17
	v_lshrrev_b32_e32 v28, v13, v27
	v_cndmask_b32_e64 v14, 0, 1, s0
	v_cmp_gt_i32_e64 s0, 31, v15
	v_fma_f16 v1, v43, v23, -v1
	v_mul_f64 v[2:3], v[2:3], s[4:5]
	v_lshlrev_b32_e32 v4, v13, v28
	v_lshl_or_b32 v29, v14, 9, 0x7c00
	v_cvt_f64_f32_e32 v[13:14], v16
	v_cndmask_b32_e64 v11, 0x7c00, v11, s0
	v_cmp_eq_u32_e64 s0, 0x40f, v15
	v_add_nc_u32_e32 v15, 0xfffffc10, v17
	v_cvt_f32_f16_e32 v1, v1
	v_and_b32_e32 v17, 0xffff, v0
	v_cndmask_b32_e64 v11, v11, v29, s0
	v_cmp_ne_u32_e64 s0, v4, v27
	v_cvt_f64_f32_e32 v[0:1], v1
	v_and_or_b32 v16, 0x8000, v12, v11
	v_cndmask_b32_e64 v4, 0, 1, s0
	s_mul_hi_u32 s0, s8, 0xfffffc17
	v_lshl_or_b32 v11, v15, 12, v7
	s_sub_i32 s2, s0, s8
	v_cmp_gt_i32_e64 s0, 1, v15
	v_or_b32_e32 v4, v28, v4
	v_and_or_b32 v2, 0x1ff, v3, v2
	s_add_i32 s3, s2, s1
	v_lshl_or_b32 v16, v16, 16, v17
	s_mul_i32 s2, s8, 0xfffffc17
	v_cndmask_b32_e64 v4, v11, v4, s0
	v_mul_f64 v[11:12], v[13:14], s[4:5]
	v_cmp_ne_u32_e64 s0, 0, v2
	v_lshrrev_b32_e32 v13, 8, v3
	v_bfe_u32 v14, v3, 20, 11
	v_and_b32_e32 v23, 7, v4
	v_lshrrev_b32_e32 v4, 2, v4
	v_cndmask_b32_e64 v2, 0, 1, s0
	v_mul_f64 v[0:1], v[0:1], s[4:5]
	s_lshl_b64 s[6:7], s[2:3], 2
	v_cmp_lt_i32_e64 s0, 5, v23
	v_cmp_eq_u32_e64 s1, 3, v23
	v_and_or_b32 v2, 0xffe, v13, v2
	v_sub_nc_u32_e32 v13, 0x3f1, v14
	v_add_nc_u32_e32 v14, 0xfffffc10, v14
	v_lshrrev_b32_e32 v3, 16, v3
	s_or_b32 s0, s1, s0
	v_or_b32_e32 v17, 0x1000, v2
	v_add_co_ci_u32_e64 v4, s0, 0, v4, s0
	v_med3_i32 v13, v13, 0, 13
	v_cmp_ne_u32_e64 s0, 0, v7
	v_and_or_b32 v11, 0x1ff, v12, v11
	v_lshrrev_b32_e32 v27, 8, v12
	v_lshrrev_b32_e32 v23, v13, v17
	v_cndmask_b32_e64 v7, 0, 1, s0
	v_cmp_gt_i32_e64 s0, 31, v15
	v_bfe_u32 v28, v12, 20, 11
	v_lshlrev_b32_e32 v13, v13, v23
	v_lshl_or_b32 v7, v7, 9, 0x7c00
	v_cndmask_b32_e64 v4, 0x7c00, v4, s0
	v_cmp_ne_u32_e64 s0, 0, v11
	v_and_or_b32 v0, 0x1ff, v1, v0
	v_cndmask_b32_e64 v11, 0, 1, s0
	v_cmp_ne_u32_e64 s0, v13, v17
	v_sub_nc_u32_e32 v17, 0x3f1, v28
	v_and_or_b32 v11, 0xffe, v27, v11
	v_cndmask_b32_e64 v13, 0, 1, s0
	v_cmp_eq_u32_e64 s0, 0x40f, v15
	v_med3_i32 v17, v17, 0, 13
	v_bfe_u32 v27, v1, 20, 11
	v_or_b32_e32 v15, 0x1000, v11
	v_cndmask_b32_e64 v4, v4, v7, s0
	v_or_b32_e32 v7, v23, v13
	v_lshl_or_b32 v13, v14, 12, v2
	v_cmp_gt_i32_e64 s0, 1, v14
	v_lshrrev_b32_e32 v23, 8, v1
	v_and_or_b32 v4, 0x8000, v8, v4
	v_sub_nc_u32_e32 v8, 0x3f1, v27
	v_lshrrev_b32_e32 v1, 16, v1
	v_cndmask_b32_e64 v7, v13, v7, s0
	v_lshrrev_b32_e32 v13, v17, v15
	v_cmp_ne_u32_e64 s0, 0, v0
	v_med3_i32 v8, v8, 0, 13
	v_and_b32_e32 v4, 0xffff, v4
	v_and_b32_e32 v29, 7, v7
	v_lshlrev_b32_e32 v17, v17, v13
	v_cndmask_b32_e64 v0, 0, 1, s0
	v_lshrrev_b32_e32 v7, 2, v7
	v_cmp_lt_i32_e64 s0, 5, v29
	v_cmp_ne_u32_e64 s1, v17, v15
	v_and_or_b32 v0, 0xffe, v23, v0
	v_add_nc_u32_e32 v23, 0xfffffc10, v28
	v_cndmask_b32_e64 v15, 0, 1, s1
	v_cmp_eq_u32_e64 s1, 3, v29
	v_or_b32_e32 v17, 0x1000, v0
	v_lshl_or_b32 v28, v23, 12, v11
	v_or_b32_e32 v13, v13, v15
	s_or_b32 s0, s1, s0
	v_lshrrev_b32_e32 v15, v8, v17
	v_add_co_ci_u32_e64 v7, s0, 0, v7, s0
	v_cmp_gt_i32_e64 s0, 1, v23
	v_lshlrev_b32_e32 v8, v8, v15
	v_cndmask_b32_e64 v13, v28, v13, s0
	v_cmp_ne_u32_e64 s0, 0, v2
	v_cndmask_b32_e64 v2, 0, 1, s0
	v_cmp_ne_u32_e64 s0, v8, v17
	v_add_nc_u32_e32 v17, 0xfffffc10, v27
	v_and_b32_e32 v27, 7, v13
	v_lshl_or_b32 v2, v2, 9, 0x7c00
	v_cndmask_b32_e64 v8, 0, 1, s0
	v_cmp_gt_i32_e64 s0, 31, v14
	v_cmp_gt_i32_e64 s2, 1, v17
	v_cmp_eq_u32_e64 s1, 3, v27
	v_or_b32_e32 v8, v15, v8
	v_lshl_or_b32 v15, v17, 12, v0
	v_cndmask_b32_e64 v7, 0x7c00, v7, s0
	v_cmp_lt_i32_e64 s0, 5, v27
	v_cndmask_b32_e64 v8, v15, v8, s2
	v_cmp_eq_u32_e64 s2, 0x40f, v14
	s_or_b32 s0, s1, s0
	v_cndmask_b32_e64 v2, v7, v2, s2
	v_lshrrev_b32_e32 v7, 2, v13
	v_and_b32_e32 v13, 7, v8
	v_lshrrev_b32_e32 v8, 2, v8
	v_cmp_gt_i32_e64 s2, 31, v23
	v_add_co_ci_u32_e64 v7, s0, 0, v7, s0
	v_cmp_ne_u32_e64 s0, 0, v11
	v_cmp_eq_u32_e64 s1, 3, v13
	v_cndmask_b32_e64 v7, 0x7c00, v7, s2
	v_cndmask_b32_e64 v11, 0, 1, s0
	v_cmp_lt_i32_e64 s0, 5, v13
	v_lshl_or_b32 v11, v11, 9, 0x7c00
	s_or_b32 s0, s1, s0
	v_add_co_ci_u32_e64 v8, s0, 0, v8, s0
	v_cmp_ne_u32_e64 s0, 0, v0
	v_cndmask_b32_e64 v0, 0, 1, s0
	v_cmp_eq_u32_e64 s0, 0x40f, v23
	v_lshl_or_b32 v0, v0, 9, 0x7c00
	v_cndmask_b32_e64 v7, v7, v11, s0
	v_cmp_gt_i32_e64 s0, 31, v17
	v_lshrrev_b32_e32 v11, 16, v12
	v_and_or_b32 v12, 0x8000, v3, v2
	v_cndmask_b32_e64 v8, 0x7c00, v8, s0
	v_cmp_eq_u32_e64 s0, 0x40f, v17
	v_and_or_b32 v7, 0x8000, v11, v7
	v_lshl_or_b32 v4, v12, 16, v4
	v_cndmask_b32_e64 v0, v8, v0, s0
	v_add_co_u32 v2, s0, v9, s6
	v_add_co_ci_u32_e64 v3, s0, s7, v10, s0
	v_and_or_b32 v0, 0x8000, v1, v0
	v_and_b32_e32 v1, 0xffff, v7
	v_add_co_u32 v7, s0, v2, s12
	v_add_co_ci_u32_e64 v8, s0, s13, v3, s0
	v_lshl_or_b32 v11, v0, 16, v1
	v_add_co_u32 v0, s0, v7, s12
	v_add_co_ci_u32_e64 v1, s0, s13, v8, s0
	global_store_dword v[5:6], v18, off
	global_store_dword v[9:10], v26, off
	;; [unrolled: 1-line block ×5, first 2 shown]
	s_and_b32 exec_lo, exec_lo, vcc_lo
	s_cbranch_execz .LBB0_31
; %bb.30:
	s_clause 0x2
	global_load_dword v2, v[21:22], off offset:1848
	global_load_dword v4, v[19:20], off offset:216
	;; [unrolled: 1-line block ×3, first 2 shown]
	ds_read_b32 v3, v42 offset:1848
	ds_read_b32 v5, v42 offset:4312
	;; [unrolled: 1-line block ×3, first 2 shown]
	v_add_co_u32 v0, vcc_lo, v0, s6
	v_add_co_ci_u32_e32 v1, vcc_lo, s7, v1, vcc_lo
	v_add_co_u32 v14, vcc_lo, v0, s12
	v_add_co_ci_u32_e32 v15, vcc_lo, s13, v1, vcc_lo
	s_waitcnt lgkmcnt(2)
	v_lshrrev_b32_e32 v8, 16, v3
	s_waitcnt lgkmcnt(1)
	v_lshrrev_b32_e32 v10, 16, v5
	;; [unrolled: 2-line block ×3, first 2 shown]
	s_waitcnt vmcnt(2)
	v_mul_f16_sdwa v9, v8, v2 dst_sel:DWORD dst_unused:UNUSED_PAD src0_sel:DWORD src1_sel:WORD_1
	v_mul_f16_sdwa v11, v3, v2 dst_sel:DWORD dst_unused:UNUSED_PAD src0_sel:DWORD src1_sel:WORD_1
	s_waitcnt vmcnt(1)
	v_mul_f16_sdwa v13, v10, v4 dst_sel:DWORD dst_unused:UNUSED_PAD src0_sel:DWORD src1_sel:WORD_1
	v_fmac_f16_e32 v9, v3, v2
	v_fma_f16 v2, v2, v8, -v11
	v_mul_f16_sdwa v8, v5, v4 dst_sel:DWORD dst_unused:UNUSED_PAD src0_sel:DWORD src1_sel:WORD_1
	v_fmac_f16_e32 v13, v5, v4
	v_cvt_f32_f16_e32 v3, v9
	v_cvt_f32_f16_e32 v5, v2
	s_waitcnt vmcnt(0)
	v_mul_f16_sdwa v9, v12, v6 dst_sel:DWORD dst_unused:UNUSED_PAD src0_sel:DWORD src1_sel:WORD_1
	v_fma_f16 v8, v4, v10, -v8
	v_mul_f16_sdwa v10, v7, v6 dst_sel:DWORD dst_unused:UNUSED_PAD src0_sel:DWORD src1_sel:WORD_1
	v_cvt_f64_f32_e32 v[2:3], v3
	v_cvt_f32_f16_e32 v11, v13
	v_cvt_f64_f32_e32 v[4:5], v5
	v_fmac_f16_e32 v9, v7, v6
	v_cvt_f32_f16_e32 v8, v8
	v_fma_f16 v10, v6, v12, -v10
	v_cvt_f64_f32_e32 v[6:7], v11
	v_cvt_f32_f16_e32 v11, v9
	v_cvt_f64_f32_e32 v[8:9], v8
	v_cvt_f32_f16_e32 v12, v10
	v_cvt_f64_f32_e32 v[10:11], v11
	v_cvt_f64_f32_e32 v[12:13], v12
	v_mul_f64 v[2:3], v[2:3], s[4:5]
	v_mul_f64 v[4:5], v[4:5], s[4:5]
	;; [unrolled: 1-line block ×6, first 2 shown]
	v_and_or_b32 v2, 0x1ff, v3, v2
	v_lshrrev_b32_e32 v16, 8, v3
	v_and_or_b32 v4, 0x1ff, v5, v4
	v_bfe_u32 v17, v3, 20, 11
	v_lshrrev_b32_e32 v18, 8, v5
	v_cmp_ne_u32_e32 vcc_lo, 0, v2
	v_and_or_b32 v6, 0x1ff, v7, v6
	v_bfe_u32 v19, v5, 20, 11
	v_lshrrev_b32_e32 v20, 8, v7
	v_and_or_b32 v8, 0x1ff, v9, v8
	v_cndmask_b32_e64 v2, 0, 1, vcc_lo
	v_cmp_ne_u32_e32 vcc_lo, 0, v4
	v_bfe_u32 v21, v7, 20, 11
	v_and_or_b32 v10, 0x1ff, v11, v10
	v_bfe_u32 v23, v9, 20, 11
	v_and_or_b32 v12, 0x1ff, v13, v12
	v_cndmask_b32_e64 v4, 0, 1, vcc_lo
	v_cmp_ne_u32_e32 vcc_lo, 0, v6
	v_and_or_b32 v2, 0xffe, v16, v2
	v_sub_nc_u32_e32 v28, 0x3f1, v17
	v_add_nc_u32_e32 v17, 0xfffffc10, v17
	v_sub_nc_u32_e32 v29, 0x3f1, v19
	v_cndmask_b32_e64 v6, 0, 1, vcc_lo
	v_cmp_ne_u32_e32 vcc_lo, 0, v8
	v_and_or_b32 v4, 0xffe, v18, v4
	v_lshrrev_b32_e32 v22, 8, v9
	v_bfe_u32 v25, v11, 20, 11
	v_bfe_u32 v27, v13, 20, 11
	v_cndmask_b32_e64 v8, 0, 1, vcc_lo
	v_cmp_ne_u32_e32 vcc_lo, 0, v10
	v_add_nc_u32_e32 v19, 0xfffffc10, v19
	v_sub_nc_u32_e32 v30, 0x3f1, v21
	v_sub_nc_u32_e32 v31, 0x3f1, v23
	v_med3_i32 v16, v28, 0, 13
	v_cndmask_b32_e64 v10, 0, 1, vcc_lo
	v_cmp_ne_u32_e32 vcc_lo, 0, v12
	v_med3_i32 v18, v29, 0, 13
	v_and_or_b32 v6, 0xffe, v20, v6
	v_or_b32_e32 v28, 0x1000, v2
	v_lshl_or_b32 v29, v17, 12, v2
	v_cndmask_b32_e64 v12, 0, 1, vcc_lo
	v_cmp_ne_u32_e32 vcc_lo, 0, v2
	v_lshrrev_b32_e32 v24, 8, v11
	v_lshrrev_b32_e32 v26, 8, v13
	v_add_nc_u32_e32 v21, 0xfffffc10, v21
	v_sub_nc_u32_e32 v32, 0x3f1, v25
	v_cndmask_b32_e64 v2, 0, 1, vcc_lo
	v_cmp_ne_u32_e32 vcc_lo, 0, v4
	v_sub_nc_u32_e32 v33, 0x3f1, v27
	v_med3_i32 v20, v30, 0, 13
	v_and_or_b32 v8, 0xffe, v22, v8
	v_med3_i32 v22, v31, 0, 13
	v_or_b32_e32 v30, 0x1000, v4
	v_lshl_or_b32 v31, v19, 12, v4
	v_cndmask_b32_e64 v4, 0, 1, vcc_lo
	v_cmp_ne_u32_e32 vcc_lo, 0, v6
	v_add_nc_u32_e32 v23, 0xfffffc10, v23
	v_and_or_b32 v10, 0xffe, v24, v10
	v_med3_i32 v24, v32, 0, 13
	v_and_or_b32 v12, 0xffe, v26, v12
	v_med3_i32 v26, v33, 0, 13
	v_or_b32_e32 v32, 0x1000, v6
	v_lshl_or_b32 v33, v21, 12, v6
	v_cndmask_b32_e64 v6, 0, 1, vcc_lo
	v_cmp_ne_u32_e32 vcc_lo, 0, v8
	v_add_nc_u32_e32 v25, 0xfffffc10, v25
	v_or_b32_e32 v34, 0x1000, v8
	v_lshl_or_b32 v35, v23, 12, v8
	v_lshrrev_b32_e32 v40, v16, v28
	v_cndmask_b32_e64 v8, 0, 1, vcc_lo
	v_cmp_ne_u32_e32 vcc_lo, 0, v10
	v_add_nc_u32_e32 v27, 0xfffffc10, v27
	v_or_b32_e32 v36, 0x1000, v10
	v_lshl_or_b32 v37, v25, 12, v10
	v_lshrrev_b32_e32 v41, v18, v30
	v_cndmask_b32_e64 v10, 0, 1, vcc_lo
	v_cmp_ne_u32_e32 vcc_lo, 0, v12
	v_lshlrev_b32_e32 v16, v16, v40
	v_or_b32_e32 v38, 0x1000, v12
	v_lshl_or_b32 v39, v27, 12, v12
	v_lshrrev_b32_e32 v42, v20, v32
	v_cndmask_b32_e64 v12, 0, 1, vcc_lo
	v_lshlrev_b32_e32 v18, v18, v41
	v_cmp_ne_u32_e32 vcc_lo, v16, v28
	v_lshrrev_b32_e32 v43, v22, v34
	v_lshlrev_b32_e32 v20, v20, v42
	v_lshrrev_b32_e32 v44, v24, v36
	v_lshrrev_b32_e32 v45, v26, v38
	v_cndmask_b32_e64 v16, 0, 1, vcc_lo
	v_cmp_ne_u32_e32 vcc_lo, v18, v30
	v_lshlrev_b32_e32 v22, v22, v43
	v_lshlrev_b32_e32 v24, v24, v44
	;; [unrolled: 1-line block ×3, first 2 shown]
	v_or_b32_e32 v16, v40, v16
	v_cndmask_b32_e64 v18, 0, 1, vcc_lo
	v_cmp_ne_u32_e32 vcc_lo, v20, v32
	v_lshl_or_b32 v2, v2, 9, 0x7c00
	v_lshl_or_b32 v4, v4, 9, 0x7c00
	;; [unrolled: 1-line block ×3, first 2 shown]
	v_or_b32_e32 v18, v41, v18
	v_cndmask_b32_e64 v20, 0, 1, vcc_lo
	v_cmp_ne_u32_e32 vcc_lo, v22, v34
	v_lshl_or_b32 v8, v8, 9, 0x7c00
	v_lshl_or_b32 v10, v10, 9, 0x7c00
	v_lshrrev_b32_e32 v3, 16, v3
	v_or_b32_e32 v20, v42, v20
	v_cndmask_b32_e64 v22, 0, 1, vcc_lo
	v_cmp_ne_u32_e32 vcc_lo, v24, v36
	v_lshrrev_b32_e32 v7, 16, v7
	v_lshrrev_b32_e32 v5, 16, v5
	;; [unrolled: 1-line block ×3, first 2 shown]
	v_or_b32_e32 v22, v43, v22
	v_cndmask_b32_e64 v24, 0, 1, vcc_lo
	v_cmp_ne_u32_e32 vcc_lo, v26, v38
	v_lshl_or_b32 v12, v12, 9, 0x7c00
	v_lshrrev_b32_e32 v9, 16, v9
	v_lshrrev_b32_e32 v13, 16, v13
	v_or_b32_e32 v24, v44, v24
	v_cndmask_b32_e64 v26, 0, 1, vcc_lo
	v_cmp_gt_i32_e32 vcc_lo, 1, v17
	v_or_b32_e32 v26, v45, v26
	v_cndmask_b32_e32 v16, v29, v16, vcc_lo
	v_cmp_gt_i32_e32 vcc_lo, 1, v19
	v_and_b32_e32 v28, 7, v16
	v_cndmask_b32_e32 v18, v31, v18, vcc_lo
	v_cmp_gt_i32_e32 vcc_lo, 1, v21
	v_lshrrev_b32_e32 v16, 2, v16
	v_cmp_eq_u32_e64 s0, 3, v28
	v_and_b32_e32 v29, 7, v18
	v_cndmask_b32_e32 v20, v33, v20, vcc_lo
	v_cmp_gt_i32_e32 vcc_lo, 1, v23
	v_lshrrev_b32_e32 v18, 2, v18
	v_cmp_lt_i32_e64 s1, 5, v29
	v_and_b32_e32 v30, 7, v20
	v_cndmask_b32_e32 v22, v35, v22, vcc_lo
	v_cmp_gt_i32_e32 vcc_lo, 1, v25
	v_cmp_eq_u32_e64 s2, 3, v29
	v_lshrrev_b32_e32 v20, 2, v20
	v_cmp_lt_i32_e64 s3, 5, v30
	v_and_b32_e32 v31, 7, v22
	v_cndmask_b32_e32 v24, v37, v24, vcc_lo
	v_cmp_gt_i32_e32 vcc_lo, 1, v27
	v_cmp_eq_u32_e64 s4, 3, v30
	v_lshrrev_b32_e32 v22, 2, v22
	v_cmp_lt_i32_e64 s5, 5, v31
	v_and_b32_e32 v32, 7, v24
	v_cndmask_b32_e32 v26, v39, v26, vcc_lo
	v_cmp_lt_i32_e32 vcc_lo, 5, v28
	v_cmp_eq_u32_e64 s6, 3, v31
	v_lshrrev_b32_e32 v24, 2, v24
	v_cmp_lt_i32_e64 s7, 5, v32
	v_and_b32_e32 v33, 7, v26
	s_or_b32 vcc_lo, s0, vcc_lo
	v_cmp_eq_u32_e64 s8, 3, v32
	v_add_co_ci_u32_e32 v16, vcc_lo, 0, v16, vcc_lo
	s_or_b32 vcc_lo, s2, s1
	v_cmp_lt_i32_e64 s9, 5, v33
	v_add_co_ci_u32_e32 v18, vcc_lo, 0, v18, vcc_lo
	s_or_b32 vcc_lo, s4, s3
	v_cmp_eq_u32_e64 s10, 3, v33
	v_add_co_ci_u32_e32 v20, vcc_lo, 0, v20, vcc_lo
	s_or_b32 vcc_lo, s6, s5
	v_lshrrev_b32_e32 v26, 2, v26
	v_add_co_ci_u32_e32 v22, vcc_lo, 0, v22, vcc_lo
	s_or_b32 vcc_lo, s8, s7
	v_add_co_ci_u32_e32 v24, vcc_lo, 0, v24, vcc_lo
	s_or_b32 vcc_lo, s10, s9
	v_add_co_ci_u32_e32 v26, vcc_lo, 0, v26, vcc_lo
	v_cmp_gt_i32_e32 vcc_lo, 31, v17
	v_cndmask_b32_e32 v16, 0x7c00, v16, vcc_lo
	v_cmp_gt_i32_e32 vcc_lo, 31, v19
	v_cndmask_b32_e32 v18, 0x7c00, v18, vcc_lo
	;; [unrolled: 2-line block ×6, first 2 shown]
	v_cmp_eq_u32_e32 vcc_lo, 0x40f, v17
	v_cndmask_b32_e32 v2, v16, v2, vcc_lo
	v_cmp_eq_u32_e32 vcc_lo, 0x40f, v19
	v_and_or_b32 v2, 0x8000, v3, v2
	v_cndmask_b32_e32 v4, v18, v4, vcc_lo
	v_cmp_eq_u32_e32 vcc_lo, 0x40f, v21
	v_and_or_b32 v4, 0x8000, v5, v4
	v_cndmask_b32_e32 v6, v20, v6, vcc_lo
	v_cmp_eq_u32_e32 vcc_lo, 0x40f, v23
	v_and_or_b32 v3, 0x8000, v7, v6
	v_cndmask_b32_e32 v8, v22, v8, vcc_lo
	v_cmp_eq_u32_e32 vcc_lo, 0x40f, v25
	v_and_or_b32 v6, 0x8000, v9, v8
	v_cndmask_b32_e32 v10, v24, v10, vcc_lo
	v_cmp_eq_u32_e32 vcc_lo, 0x40f, v27
	v_and_b32_e32 v8, 0xffff, v2
	v_and_b32_e32 v9, 0xffff, v3
	v_and_or_b32 v5, 0x8000, v11, v10
	v_cndmask_b32_e32 v12, v26, v12, vcc_lo
	v_add_co_u32 v2, vcc_lo, v14, s12
	v_lshl_or_b32 v4, v4, 16, v8
	v_and_b32_e32 v5, 0xffff, v5
	v_and_or_b32 v7, 0x8000, v13, v12
	v_lshl_or_b32 v6, v6, 16, v9
	v_add_co_ci_u32_e32 v3, vcc_lo, s13, v15, vcc_lo
	v_lshl_or_b32 v5, v7, 16, v5
	global_store_dword v[0:1], v4, off
	global_store_dword v[14:15], v6, off
	;; [unrolled: 1-line block ×3, first 2 shown]
.LBB0_31:
	s_endpgm
	.section	.rodata,"a",@progbits
	.p2align	6, 0x0
	.amdhsa_kernel bluestein_single_back_len1848_dim1_half_op_CI_CI
		.amdhsa_group_segment_fixed_size 7392
		.amdhsa_private_segment_fixed_size 0
		.amdhsa_kernarg_size 104
		.amdhsa_user_sgpr_count 6
		.amdhsa_user_sgpr_private_segment_buffer 1
		.amdhsa_user_sgpr_dispatch_ptr 0
		.amdhsa_user_sgpr_queue_ptr 0
		.amdhsa_user_sgpr_kernarg_segment_ptr 1
		.amdhsa_user_sgpr_dispatch_id 0
		.amdhsa_user_sgpr_flat_scratch_init 0
		.amdhsa_user_sgpr_private_segment_size 0
		.amdhsa_wavefront_size32 1
		.amdhsa_uses_dynamic_stack 0
		.amdhsa_system_sgpr_private_segment_wavefront_offset 0
		.amdhsa_system_sgpr_workgroup_id_x 1
		.amdhsa_system_sgpr_workgroup_id_y 0
		.amdhsa_system_sgpr_workgroup_id_z 0
		.amdhsa_system_sgpr_workgroup_info 0
		.amdhsa_system_vgpr_workitem_id 0
		.amdhsa_next_free_vgpr 177
		.amdhsa_next_free_sgpr 16
		.amdhsa_reserve_vcc 1
		.amdhsa_reserve_flat_scratch 0
		.amdhsa_float_round_mode_32 0
		.amdhsa_float_round_mode_16_64 0
		.amdhsa_float_denorm_mode_32 3
		.amdhsa_float_denorm_mode_16_64 3
		.amdhsa_dx10_clamp 1
		.amdhsa_ieee_mode 1
		.amdhsa_fp16_overflow 0
		.amdhsa_workgroup_processor_mode 1
		.amdhsa_memory_ordered 1
		.amdhsa_forward_progress 0
		.amdhsa_shared_vgpr_count 0
		.amdhsa_exception_fp_ieee_invalid_op 0
		.amdhsa_exception_fp_denorm_src 0
		.amdhsa_exception_fp_ieee_div_zero 0
		.amdhsa_exception_fp_ieee_overflow 0
		.amdhsa_exception_fp_ieee_underflow 0
		.amdhsa_exception_fp_ieee_inexact 0
		.amdhsa_exception_int_div_zero 0
	.end_amdhsa_kernel
	.text
.Lfunc_end0:
	.size	bluestein_single_back_len1848_dim1_half_op_CI_CI, .Lfunc_end0-bluestein_single_back_len1848_dim1_half_op_CI_CI
                                        ; -- End function
	.section	.AMDGPU.csdata,"",@progbits
; Kernel info:
; codeLenInByte = 19908
; NumSgprs: 18
; NumVgprs: 177
; ScratchSize: 0
; MemoryBound: 0
; FloatMode: 240
; IeeeMode: 1
; LDSByteSize: 7392 bytes/workgroup (compile time only)
; SGPRBlocks: 2
; VGPRBlocks: 22
; NumSGPRsForWavesPerEU: 18
; NumVGPRsForWavesPerEU: 177
; Occupancy: 5
; WaveLimiterHint : 1
; COMPUTE_PGM_RSRC2:SCRATCH_EN: 0
; COMPUTE_PGM_RSRC2:USER_SGPR: 6
; COMPUTE_PGM_RSRC2:TRAP_HANDLER: 0
; COMPUTE_PGM_RSRC2:TGID_X_EN: 1
; COMPUTE_PGM_RSRC2:TGID_Y_EN: 0
; COMPUTE_PGM_RSRC2:TGID_Z_EN: 0
; COMPUTE_PGM_RSRC2:TIDIG_COMP_CNT: 0
	.text
	.p2alignl 6, 3214868480
	.fill 48, 4, 3214868480
	.type	__hip_cuid_7b913af097e791ca,@object ; @__hip_cuid_7b913af097e791ca
	.section	.bss,"aw",@nobits
	.globl	__hip_cuid_7b913af097e791ca
__hip_cuid_7b913af097e791ca:
	.byte	0                               ; 0x0
	.size	__hip_cuid_7b913af097e791ca, 1

	.ident	"AMD clang version 19.0.0git (https://github.com/RadeonOpenCompute/llvm-project roc-6.4.0 25133 c7fe45cf4b819c5991fe208aaa96edf142730f1d)"
	.section	".note.GNU-stack","",@progbits
	.addrsig
	.addrsig_sym __hip_cuid_7b913af097e791ca
	.amdgpu_metadata
---
amdhsa.kernels:
  - .args:
      - .actual_access:  read_only
        .address_space:  global
        .offset:         0
        .size:           8
        .value_kind:     global_buffer
      - .actual_access:  read_only
        .address_space:  global
        .offset:         8
        .size:           8
        .value_kind:     global_buffer
      - .actual_access:  read_only
        .address_space:  global
        .offset:         16
        .size:           8
        .value_kind:     global_buffer
      - .actual_access:  read_only
        .address_space:  global
        .offset:         24
        .size:           8
        .value_kind:     global_buffer
      - .actual_access:  read_only
        .address_space:  global
        .offset:         32
        .size:           8
        .value_kind:     global_buffer
      - .offset:         40
        .size:           8
        .value_kind:     by_value
      - .address_space:  global
        .offset:         48
        .size:           8
        .value_kind:     global_buffer
      - .address_space:  global
        .offset:         56
        .size:           8
        .value_kind:     global_buffer
      - .address_space:  global
        .offset:         64
        .size:           8
        .value_kind:     global_buffer
      - .address_space:  global
        .offset:         72
        .size:           8
        .value_kind:     global_buffer
      - .offset:         80
        .size:           4
        .value_kind:     by_value
      - .address_space:  global
        .offset:         88
        .size:           8
        .value_kind:     global_buffer
      - .address_space:  global
        .offset:         96
        .size:           8
        .value_kind:     global_buffer
    .group_segment_fixed_size: 7392
    .kernarg_segment_align: 8
    .kernarg_segment_size: 104
    .language:       OpenCL C
    .language_version:
      - 2
      - 0
    .max_flat_workgroup_size: 231
    .name:           bluestein_single_back_len1848_dim1_half_op_CI_CI
    .private_segment_fixed_size: 0
    .sgpr_count:     18
    .sgpr_spill_count: 0
    .symbol:         bluestein_single_back_len1848_dim1_half_op_CI_CI.kd
    .uniform_work_group_size: 1
    .uses_dynamic_stack: false
    .vgpr_count:     177
    .vgpr_spill_count: 0
    .wavefront_size: 32
    .workgroup_processor_mode: 1
amdhsa.target:   amdgcn-amd-amdhsa--gfx1030
amdhsa.version:
  - 1
  - 2
...

	.end_amdgpu_metadata
